;; amdgpu-corpus repo=ROCm/rocFFT kind=compiled arch=gfx906 opt=O3
	.text
	.amdgcn_target "amdgcn-amd-amdhsa--gfx906"
	.amdhsa_code_object_version 6
	.protected	fft_rtc_back_len1200_factors_5_5_16_3_wgs_225_tpt_75_halfLds_dp_ip_CI_unitstride_sbrr_R2C_dirReg ; -- Begin function fft_rtc_back_len1200_factors_5_5_16_3_wgs_225_tpt_75_halfLds_dp_ip_CI_unitstride_sbrr_R2C_dirReg
	.globl	fft_rtc_back_len1200_factors_5_5_16_3_wgs_225_tpt_75_halfLds_dp_ip_CI_unitstride_sbrr_R2C_dirReg
	.p2align	8
	.type	fft_rtc_back_len1200_factors_5_5_16_3_wgs_225_tpt_75_halfLds_dp_ip_CI_unitstride_sbrr_R2C_dirReg,@function
fft_rtc_back_len1200_factors_5_5_16_3_wgs_225_tpt_75_halfLds_dp_ip_CI_unitstride_sbrr_R2C_dirReg: ; @fft_rtc_back_len1200_factors_5_5_16_3_wgs_225_tpt_75_halfLds_dp_ip_CI_unitstride_sbrr_R2C_dirReg
; %bb.0:
	s_load_dwordx2 s[12:13], s[4:5], 0x50
	s_load_dwordx4 s[8:11], s[4:5], 0x0
	s_load_dwordx2 s[2:3], s[4:5], 0x18
	v_mul_u32_u24_e32 v1, 0x36a, v0
	v_lshrrev_b32_e32 v1, 16, v1
	v_mad_u64_u32 v[1:2], s[0:1], s6, 3, v[1:2]
	v_mov_b32_e32 v5, 0
	s_waitcnt lgkmcnt(0)
	v_cmp_lt_u64_e64 s[0:1], s[10:11], 2
	v_mov_b32_e32 v2, v5
	v_mov_b32_e32 v3, 0
	;; [unrolled: 1-line block ×3, first 2 shown]
	s_and_b64 vcc, exec, s[0:1]
	v_mov_b32_e32 v4, 0
	v_mov_b32_e32 v9, v1
	s_cbranch_vccnz .LBB0_8
; %bb.1:
	s_load_dwordx2 s[0:1], s[4:5], 0x10
	s_add_u32 s6, s2, 8
	s_addc_u32 s7, s3, 0
	v_mov_b32_e32 v3, 0
	v_mov_b32_e32 v8, v2
	s_waitcnt lgkmcnt(0)
	s_add_u32 s16, s0, 8
	s_mov_b64 s[14:15], 1
	v_mov_b32_e32 v4, 0
	s_addc_u32 s17, s1, 0
	v_mov_b32_e32 v7, v1
.LBB0_2:                                ; =>This Inner Loop Header: Depth=1
	s_load_dwordx2 s[18:19], s[16:17], 0x0
                                        ; implicit-def: $vgpr9_vgpr10
	s_waitcnt lgkmcnt(0)
	v_or_b32_e32 v6, s19, v8
	v_cmp_ne_u64_e32 vcc, 0, v[5:6]
	s_and_saveexec_b64 s[0:1], vcc
	s_xor_b64 s[20:21], exec, s[0:1]
	s_cbranch_execz .LBB0_4
; %bb.3:                                ;   in Loop: Header=BB0_2 Depth=1
	v_cvt_f32_u32_e32 v2, s18
	v_cvt_f32_u32_e32 v6, s19
	s_sub_u32 s0, 0, s18
	s_subb_u32 s1, 0, s19
	v_mac_f32_e32 v2, 0x4f800000, v6
	v_rcp_f32_e32 v2, v2
	v_mul_f32_e32 v2, 0x5f7ffffc, v2
	v_mul_f32_e32 v6, 0x2f800000, v2
	v_trunc_f32_e32 v6, v6
	v_mac_f32_e32 v2, 0xcf800000, v6
	v_cvt_u32_f32_e32 v6, v6
	v_cvt_u32_f32_e32 v2, v2
	v_mul_lo_u32 v9, s0, v6
	v_mul_hi_u32 v10, s0, v2
	v_mul_lo_u32 v12, s1, v2
	v_mul_lo_u32 v11, s0, v2
	v_add_u32_e32 v9, v10, v9
	v_add_u32_e32 v9, v9, v12
	v_mul_hi_u32 v10, v2, v11
	v_mul_lo_u32 v12, v2, v9
	v_mul_hi_u32 v14, v2, v9
	v_mul_hi_u32 v13, v6, v11
	v_mul_lo_u32 v11, v6, v11
	v_mul_hi_u32 v15, v6, v9
	v_add_co_u32_e32 v10, vcc, v10, v12
	v_addc_co_u32_e32 v12, vcc, 0, v14, vcc
	v_mul_lo_u32 v9, v6, v9
	v_add_co_u32_e32 v10, vcc, v10, v11
	v_addc_co_u32_e32 v10, vcc, v12, v13, vcc
	v_addc_co_u32_e32 v11, vcc, 0, v15, vcc
	v_add_co_u32_e32 v9, vcc, v10, v9
	v_addc_co_u32_e32 v10, vcc, 0, v11, vcc
	v_add_co_u32_e32 v2, vcc, v2, v9
	v_addc_co_u32_e32 v6, vcc, v6, v10, vcc
	v_mul_lo_u32 v9, s0, v6
	v_mul_hi_u32 v10, s0, v2
	v_mul_lo_u32 v11, s1, v2
	v_mul_lo_u32 v12, s0, v2
	v_add_u32_e32 v9, v10, v9
	v_add_u32_e32 v9, v9, v11
	v_mul_lo_u32 v13, v2, v9
	v_mul_hi_u32 v14, v2, v12
	v_mul_hi_u32 v15, v2, v9
	;; [unrolled: 1-line block ×3, first 2 shown]
	v_mul_lo_u32 v12, v6, v12
	v_mul_hi_u32 v10, v6, v9
	v_add_co_u32_e32 v13, vcc, v14, v13
	v_addc_co_u32_e32 v14, vcc, 0, v15, vcc
	v_mul_lo_u32 v9, v6, v9
	v_add_co_u32_e32 v12, vcc, v13, v12
	v_addc_co_u32_e32 v11, vcc, v14, v11, vcc
	v_addc_co_u32_e32 v10, vcc, 0, v10, vcc
	v_add_co_u32_e32 v9, vcc, v11, v9
	v_addc_co_u32_e32 v10, vcc, 0, v10, vcc
	v_add_co_u32_e32 v2, vcc, v2, v9
	v_addc_co_u32_e32 v6, vcc, v6, v10, vcc
	v_mad_u64_u32 v[9:10], s[0:1], v7, v6, 0
	v_mul_hi_u32 v11, v7, v2
	v_add_co_u32_e32 v13, vcc, v11, v9
	v_addc_co_u32_e32 v14, vcc, 0, v10, vcc
	v_mad_u64_u32 v[9:10], s[0:1], v8, v2, 0
	v_mad_u64_u32 v[11:12], s[0:1], v8, v6, 0
	v_add_co_u32_e32 v2, vcc, v13, v9
	v_addc_co_u32_e32 v2, vcc, v14, v10, vcc
	v_addc_co_u32_e32 v6, vcc, 0, v12, vcc
	v_add_co_u32_e32 v2, vcc, v2, v11
	v_addc_co_u32_e32 v6, vcc, 0, v6, vcc
	v_mul_lo_u32 v11, s19, v2
	v_mul_lo_u32 v12, s18, v6
	v_mad_u64_u32 v[9:10], s[0:1], s18, v2, 0
	v_add3_u32 v10, v10, v12, v11
	v_sub_u32_e32 v11, v8, v10
	v_mov_b32_e32 v12, s19
	v_sub_co_u32_e32 v9, vcc, v7, v9
	v_subb_co_u32_e64 v11, s[0:1], v11, v12, vcc
	v_subrev_co_u32_e64 v12, s[0:1], s18, v9
	v_subbrev_co_u32_e64 v11, s[0:1], 0, v11, s[0:1]
	v_cmp_le_u32_e64 s[0:1], s19, v11
	v_cndmask_b32_e64 v13, 0, -1, s[0:1]
	v_cmp_le_u32_e64 s[0:1], s18, v12
	v_cndmask_b32_e64 v12, 0, -1, s[0:1]
	v_cmp_eq_u32_e64 s[0:1], s19, v11
	v_cndmask_b32_e64 v11, v13, v12, s[0:1]
	v_add_co_u32_e64 v12, s[0:1], 2, v2
	v_addc_co_u32_e64 v13, s[0:1], 0, v6, s[0:1]
	v_add_co_u32_e64 v14, s[0:1], 1, v2
	v_addc_co_u32_e64 v15, s[0:1], 0, v6, s[0:1]
	v_subb_co_u32_e32 v10, vcc, v8, v10, vcc
	v_cmp_ne_u32_e64 s[0:1], 0, v11
	v_cmp_le_u32_e32 vcc, s19, v10
	v_cndmask_b32_e64 v11, v15, v13, s[0:1]
	v_cndmask_b32_e64 v13, 0, -1, vcc
	v_cmp_le_u32_e32 vcc, s18, v9
	v_cndmask_b32_e64 v9, 0, -1, vcc
	v_cmp_eq_u32_e32 vcc, s19, v10
	v_cndmask_b32_e32 v9, v13, v9, vcc
	v_cmp_ne_u32_e32 vcc, 0, v9
	v_cndmask_b32_e32 v10, v6, v11, vcc
	v_cndmask_b32_e64 v6, v14, v12, s[0:1]
	v_cndmask_b32_e32 v9, v2, v6, vcc
.LBB0_4:                                ;   in Loop: Header=BB0_2 Depth=1
	s_andn2_saveexec_b64 s[0:1], s[20:21]
	s_cbranch_execz .LBB0_6
; %bb.5:                                ;   in Loop: Header=BB0_2 Depth=1
	v_cvt_f32_u32_e32 v2, s18
	s_sub_i32 s20, 0, s18
	v_rcp_iflag_f32_e32 v2, v2
	v_mul_f32_e32 v2, 0x4f7ffffe, v2
	v_cvt_u32_f32_e32 v2, v2
	v_mul_lo_u32 v6, s20, v2
	v_mul_hi_u32 v6, v2, v6
	v_add_u32_e32 v2, v2, v6
	v_mul_hi_u32 v2, v7, v2
	v_mul_lo_u32 v6, v2, s18
	v_add_u32_e32 v9, 1, v2
	v_sub_u32_e32 v6, v7, v6
	v_subrev_u32_e32 v10, s18, v6
	v_cmp_le_u32_e32 vcc, s18, v6
	v_cndmask_b32_e32 v6, v6, v10, vcc
	v_cndmask_b32_e32 v2, v2, v9, vcc
	v_add_u32_e32 v9, 1, v2
	v_cmp_le_u32_e32 vcc, s18, v6
	v_cndmask_b32_e32 v9, v2, v9, vcc
	v_mov_b32_e32 v10, v5
.LBB0_6:                                ;   in Loop: Header=BB0_2 Depth=1
	s_or_b64 exec, exec, s[0:1]
	v_mul_lo_u32 v2, v10, s18
	v_mul_lo_u32 v6, v9, s19
	v_mad_u64_u32 v[11:12], s[0:1], v9, s18, 0
	s_load_dwordx2 s[0:1], s[6:7], 0x0
	s_add_u32 s14, s14, 1
	v_add3_u32 v2, v12, v6, v2
	v_sub_co_u32_e32 v6, vcc, v7, v11
	v_subb_co_u32_e32 v2, vcc, v8, v2, vcc
	s_waitcnt lgkmcnt(0)
	v_mul_lo_u32 v2, s0, v2
	v_mul_lo_u32 v7, s1, v6
	v_mad_u64_u32 v[3:4], s[0:1], s0, v6, v[3:4]
	s_addc_u32 s15, s15, 0
	s_add_u32 s6, s6, 8
	v_add3_u32 v4, v7, v4, v2
	v_mov_b32_e32 v6, s10
	v_mov_b32_e32 v7, s11
	s_addc_u32 s7, s7, 0
	v_cmp_ge_u64_e32 vcc, s[14:15], v[6:7]
	s_add_u32 s16, s16, 8
	s_addc_u32 s17, s17, 0
	s_cbranch_vccnz .LBB0_8
; %bb.7:                                ;   in Loop: Header=BB0_2 Depth=1
	v_mov_b32_e32 v7, v9
	v_mov_b32_e32 v8, v10
	s_branch .LBB0_2
.LBB0_8:
	s_lshl_b64 s[0:1], s[10:11], 3
	s_add_u32 s0, s2, s0
	s_addc_u32 s1, s3, s1
	s_load_dwordx2 s[0:1], s[0:1], 0x0
	s_mov_b32 s2, 0xaaaaaaab
	v_mul_hi_u32 v5, v1, s2
	s_load_dwordx2 s[2:3], s[4:5], 0x20
                                        ; implicit-def: $vgpr86
                                        ; implicit-def: $vgpr90
                                        ; implicit-def: $vgpr88
	s_waitcnt lgkmcnt(0)
	v_mul_lo_u32 v6, s0, v10
	v_mul_lo_u32 v7, s1, v9
	v_mad_u64_u32 v[2:3], s[0:1], s0, v9, v[3:4]
	s_mov_b32 s0, 0x369d037
	v_lshrrev_b32_e32 v4, 1, v5
	v_mul_hi_u32 v5, v0, s0
	v_lshl_add_u32 v4, v4, 1, v4
	v_sub_u32_e32 v1, v1, v4
	v_cmp_gt_u64_e64 s[0:1], s[2:3], v[9:10]
	v_cmp_le_u64_e32 vcc, s[2:3], v[9:10]
	v_mul_u32_u24_e32 v4, 0x4b, v5
	v_add3_u32 v3, v7, v3, v6
	v_sub_u32_e32 v82, v0, v4
	s_and_saveexec_b64 s[2:3], vcc
	s_xor_b64 s[2:3], exec, s[2:3]
; %bb.9:
	v_add_u32_e32 v86, 0x4b, v82
	v_add_u32_e32 v90, 0x96, v82
	v_add_u32_e32 v88, 0xe1, v82
; %bb.10:
	s_or_saveexec_b64 s[2:3], s[2:3]
	v_mul_u32_u24_e32 v89, 0x4b1, v1
	v_lshlrev_b64 v[84:85], 4, v[2:3]
	v_lshlrev_b32_e32 v94, 4, v89
	v_lshlrev_b32_e32 v87, 4, v82
	s_xor_b64 exec, exec, s[2:3]
	s_cbranch_execz .LBB0_12
; %bb.11:
	v_mov_b32_e32 v83, 0
	v_mov_b32_e32 v0, s13
	v_add_co_u32_e32 v2, vcc, s12, v84
	v_addc_co_u32_e32 v3, vcc, v0, v85, vcc
	v_lshlrev_b64 v[0:1], 4, v[82:83]
	s_movk_i32 s4, 0x1000
	v_add_co_u32_e32 v55, vcc, v2, v0
	v_addc_co_u32_e32 v56, vcc, v3, v1, vcc
	v_add_co_u32_e32 v40, vcc, s4, v55
	v_addc_co_u32_e32 v41, vcc, 0, v56, vcc
	s_movk_i32 s4, 0x2000
	v_add_co_u32_e32 v48, vcc, s4, v55
	v_addc_co_u32_e32 v49, vcc, 0, v56, vcc
	s_movk_i32 s4, 0x3000
	v_add_co_u32_e32 v57, vcc, s4, v55
	v_addc_co_u32_e32 v58, vcc, 0, v56, vcc
	v_add_co_u32_e32 v64, vcc, 0x4000, v55
	v_addc_co_u32_e32 v65, vcc, 0, v56, vcc
	global_load_dwordx4 v[0:3], v[55:56], off
	global_load_dwordx4 v[4:7], v[55:56], off offset:1200
	global_load_dwordx4 v[8:11], v[55:56], off offset:2400
	;; [unrolled: 1-line block ×9, first 2 shown]
	s_nop 0
	global_load_dwordx4 v[40:43], v[48:49], off offset:3808
	global_load_dwordx4 v[44:47], v[57:58], off offset:912
	s_nop 0
	global_load_dwordx4 v[48:51], v[57:58], off offset:2112
	global_load_dwordx4 v[52:55], v[57:58], off offset:3312
	;; [unrolled: 3-line block ×3, first 2 shown]
	v_add3_u32 v64, 0, v94, v87
	v_add_u32_e32 v86, 0x4b, v82
	v_add_u32_e32 v90, 0x96, v82
	;; [unrolled: 1-line block ×3, first 2 shown]
	s_waitcnt vmcnt(15)
	ds_write_b128 v64, v[0:3]
	s_waitcnt vmcnt(14)
	ds_write_b128 v64, v[4:7] offset:1200
	s_waitcnt vmcnt(13)
	ds_write_b128 v64, v[8:11] offset:2400
	;; [unrolled: 2-line block ×15, first 2 shown]
.LBB0_12:
	s_or_b64 exec, exec, s[2:3]
	v_add_u32_e32 v91, 0, v87
	v_add_u32_e32 v93, 0, v94
	;; [unrolled: 1-line block ×3, first 2 shown]
	s_waitcnt lgkmcnt(0)
	s_barrier
	v_add_u32_e32 v92, v93, v87
	ds_read_b128 v[26:29], v83 offset:3840
	ds_read_b128 v[30:33], v92
	ds_read_b128 v[34:37], v83 offset:7680
	ds_read_b128 v[38:41], v83 offset:11520
	;; [unrolled: 1-line block ×10, first 2 shown]
	s_waitcnt lgkmcnt(10)
	v_add_f64 v[0:1], v[30:31], v[26:27]
	s_waitcnt lgkmcnt(8)
	v_add_f64 v[2:3], v[34:35], v[38:39]
	s_waitcnt lgkmcnt(3)
	v_add_f64 v[103:104], v[26:27], v[78:79]
	v_add_f64 v[8:9], v[28:29], -v[80:81]
	v_add_f64 v[101:102], v[36:37], -v[40:41]
	;; [unrolled: 1-line block ×4, first 2 shown]
	s_mov_b32 s4, 0x134454ff
	v_add_f64 v[0:1], v[0:1], v[34:35]
	v_fma_f64 v[2:3], v[2:3], -0.5, v[30:31]
	v_fma_f64 v[30:31], v[103:104], -0.5, v[30:31]
	s_mov_b32 s5, 0xbfee6f0e
	s_mov_b32 s7, 0x3fee6f0e
	;; [unrolled: 1-line block ×3, first 2 shown]
	v_add_f64 v[103:104], v[105:106], v[107:108]
	v_add_f64 v[105:106], v[36:37], v[40:41]
	;; [unrolled: 1-line block ×3, first 2 shown]
	v_fma_f64 v[99:100], v[8:9], s[4:5], v[2:3]
	v_fma_f64 v[2:3], v[8:9], s[6:7], v[2:3]
	;; [unrolled: 1-line block ×4, first 2 shown]
	s_mov_b32 s2, 0x4755a5e
	s_mov_b32 s3, 0xbfe2cf23
	;; [unrolled: 1-line block ×4, first 2 shown]
	v_add_f64 v[0:1], v[0:1], v[78:79]
	v_fma_f64 v[99:100], v[101:102], s[2:3], v[99:100]
	v_add_f64 v[109:110], v[34:35], -v[26:27]
	v_add_f64 v[111:112], v[38:39], -v[78:79]
	v_add_f64 v[113:114], v[32:33], v[28:29]
	v_fma_f64 v[105:106], v[105:106], -0.5, v[32:33]
	v_add_f64 v[78:79], v[26:27], -v[78:79]
	v_fma_f64 v[2:3], v[101:102], s[10:11], v[2:3]
	v_fma_f64 v[101:102], v[8:9], s[2:3], v[107:108]
	;; [unrolled: 1-line block ×3, first 2 shown]
	v_add_f64 v[30:31], v[28:29], v[80:81]
	s_mov_b32 s14, 0x372fe950
	s_mov_b32 s15, 0x3fd3c6ef
	v_add_f64 v[107:108], v[109:110], v[111:112]
	v_add_f64 v[109:110], v[113:114], v[36:37]
	v_fma_f64 v[111:112], v[78:79], s[6:7], v[105:106]
	v_add_f64 v[113:114], v[34:35], -v[38:39]
	v_fma_f64 v[38:39], v[103:104], s[14:15], v[99:100]
	v_fma_f64 v[26:27], v[103:104], s[14:15], v[2:3]
	v_fma_f64 v[2:3], v[30:31], -0.5, v[32:33]
	v_add_f64 v[99:100], v[28:29], -v[36:37]
	v_add_f64 v[103:104], v[80:81], -v[40:41]
	v_fma_f64 v[105:106], v[78:79], s[4:5], v[105:106]
	v_fma_f64 v[34:35], v[107:108], s[14:15], v[101:102]
	;; [unrolled: 1-line block ×3, first 2 shown]
	v_add_f64 v[8:9], v[109:110], v[40:41]
	v_fma_f64 v[32:33], v[113:114], s[10:11], v[111:112]
	v_add_f64 v[101:102], v[70:71], v[74:75]
	v_fma_f64 v[107:108], v[113:114], s[4:5], v[2:3]
	v_add_f64 v[28:29], v[36:37], -v[28:29]
	v_add_f64 v[36:37], v[40:41], -v[80:81]
	v_fma_f64 v[2:3], v[113:114], s[6:7], v[2:3]
	v_add_f64 v[40:41], v[66:67], v[62:63]
	v_add_f64 v[99:100], v[99:100], v[103:104]
	v_fma_f64 v[103:104], v[113:114], s[2:3], v[105:106]
	s_waitcnt lgkmcnt(2)
	v_add_f64 v[113:114], v[62:63], v[95:96]
	v_fma_f64 v[101:102], v[101:102], -0.5, v[66:67]
	v_add_f64 v[109:110], v[64:65], -v[97:98]
	v_fma_f64 v[105:106], v[78:79], s[10:11], v[107:108]
	v_add_f64 v[107:108], v[28:29], v[36:37]
	v_fma_f64 v[78:79], v[78:79], s[2:3], v[2:3]
	v_add_f64 v[111:112], v[40:41], v[70:71]
	v_add_f64 v[117:118], v[72:73], -v[76:77]
	v_add_f64 v[2:3], v[8:9], v[80:81]
	v_fma_f64 v[8:9], v[113:114], -0.5, v[66:67]
	v_fma_f64 v[115:116], v[109:110], s[4:5], v[101:102]
	v_fma_f64 v[40:41], v[99:100], s[14:15], v[32:33]
	;; [unrolled: 1-line block ×5, first 2 shown]
	v_add_f64 v[66:67], v[111:112], v[74:75]
	v_add_f64 v[78:79], v[62:63], -v[70:71]
	v_add_f64 v[99:100], v[68:69], v[64:65]
	v_add_f64 v[105:106], v[95:96], -v[74:75]
	v_fma_f64 v[101:102], v[109:110], s[6:7], v[101:102]
	v_fma_f64 v[107:108], v[117:118], s[6:7], v[8:9]
	v_add_f64 v[111:112], v[70:71], -v[62:63]
	v_add_f64 v[113:114], v[74:75], -v[95:96]
	v_fma_f64 v[8:9], v[117:118], s[4:5], v[8:9]
	v_fma_f64 v[80:81], v[117:118], s[2:3], v[115:116]
	v_add_f64 v[103:104], v[72:73], v[76:77]
	v_add_f64 v[99:100], v[99:100], v[72:73]
	v_add_f64 v[115:116], v[62:63], -v[95:96]
	v_add_f64 v[62:63], v[78:79], v[105:106]
	v_fma_f64 v[101:102], v[117:118], s[10:11], v[101:102]
	v_fma_f64 v[105:106], v[109:110], s[2:3], v[107:108]
	v_add_f64 v[107:108], v[111:112], v[113:114]
	v_fma_f64 v[8:9], v[109:110], s[10:11], v[8:9]
	v_add_f64 v[109:110], v[64:65], v[97:98]
	ds_read_b128 v[42:45], v83 offset:6240
	ds_read_b128 v[14:17], v83 offset:7440
	v_fma_f64 v[103:104], v[103:104], -0.5, v[68:69]
	v_add_f64 v[99:100], v[99:100], v[76:77]
	v_add_f64 v[113:114], v[70:71], -v[74:75]
	v_add_f64 v[78:79], v[66:67], v[95:96]
	v_fma_f64 v[74:75], v[62:63], s[14:15], v[80:81]
	v_fma_f64 v[62:63], v[62:63], s[14:15], v[101:102]
	;; [unrolled: 1-line block ×3, first 2 shown]
	v_fma_f64 v[8:9], v[109:110], -0.5, v[68:69]
	s_waitcnt lgkmcnt(1)
	v_add_f64 v[101:102], v[54:55], v[42:43]
	ds_read_b128 v[46:49], v83 offset:10080
	ds_read_b128 v[18:21], v83 offset:11280
	;; [unrolled: 1-line block ×4, first 2 shown]
	v_fma_f64 v[111:112], v[115:116], s[6:7], v[103:104]
	v_fma_f64 v[70:71], v[107:108], s[14:15], v[105:106]
	v_add_f64 v[80:81], v[99:100], v[97:98]
	v_add_f64 v[95:96], v[64:65], -v[72:73]
	v_add_f64 v[99:100], v[97:98], -v[76:77]
	v_fma_f64 v[103:104], v[115:116], s[4:5], v[103:104]
	s_waitcnt lgkmcnt(1)
	v_add_f64 v[105:106], v[46:47], v[50:51]
	v_fma_f64 v[107:108], v[113:114], s[4:5], v[8:9]
	v_add_f64 v[64:65], v[72:73], -v[64:65]
	v_add_f64 v[72:73], v[76:77], -v[97:98]
	v_fma_f64 v[8:9], v[113:114], s[6:7], v[8:9]
	v_add_f64 v[76:77], v[101:102], v[46:47]
	ds_read_b128 v[58:61], v83 offset:17760
	ds_read_b128 v[22:25], v83 offset:18960
	v_fma_f64 v[68:69], v[113:114], s[10:11], v[111:112]
	v_add_f64 v[95:96], v[95:96], v[99:100]
	v_fma_f64 v[97:98], v[113:114], s[2:3], v[103:104]
	v_fma_f64 v[99:100], v[105:106], -0.5, v[54:55]
	s_waitcnt lgkmcnt(1)
	v_add_f64 v[101:102], v[44:45], -v[60:61]
	v_fma_f64 v[103:104], v[115:116], s[10:11], v[107:108]
	v_add_f64 v[105:106], v[64:65], v[72:73]
	v_fma_f64 v[8:9], v[115:116], s[2:3], v[8:9]
	v_add_f64 v[107:108], v[42:43], v[58:59]
	v_add_f64 v[109:110], v[76:77], v[50:51]
	v_fma_f64 v[76:77], v[95:96], s[14:15], v[68:69]
	v_fma_f64 v[64:65], v[95:96], s[14:15], v[97:98]
	;; [unrolled: 1-line block ×3, first 2 shown]
	v_add_f64 v[97:98], v[48:49], -v[52:53]
	v_fma_f64 v[72:73], v[105:106], s[14:15], v[103:104]
	v_fma_f64 v[68:69], v[105:106], s[14:15], v[8:9]
	v_fma_f64 v[8:9], v[107:108], -0.5, v[54:55]
	v_add_f64 v[54:55], v[109:110], v[58:59]
	v_add_f64 v[103:104], v[42:43], -v[46:47]
	v_add_f64 v[105:106], v[58:59], -v[50:51]
	v_fma_f64 v[99:100], v[101:102], s[6:7], v[99:100]
	v_add_f64 v[107:108], v[56:57], v[44:45]
	v_add_f64 v[109:110], v[48:49], v[52:53]
	v_fma_f64 v[95:96], v[97:98], s[2:3], v[95:96]
	v_fma_f64 v[111:112], v[97:98], s[6:7], v[8:9]
	v_add_f64 v[113:114], v[46:47], -v[42:43]
	v_add_f64 v[115:116], v[50:51], -v[58:59]
	v_add_f64 v[103:104], v[103:104], v[105:106]
	v_fma_f64 v[99:100], v[97:98], s[10:11], v[99:100]
	v_fma_f64 v[8:9], v[97:98], s[4:5], v[8:9]
	v_add_f64 v[97:98], v[107:108], v[48:49]
	v_fma_f64 v[105:106], v[109:110], -0.5, v[56:57]
	v_add_f64 v[107:108], v[42:43], -v[58:59]
	v_fma_f64 v[109:110], v[101:102], s[2:3], v[111:112]
	v_add_f64 v[111:112], v[113:114], v[115:116]
	v_fma_f64 v[42:43], v[103:104], s[14:15], v[95:96]
	v_fma_f64 v[58:59], v[103:104], s[14:15], v[99:100]
	v_fma_f64 v[8:9], v[101:102], s[10:11], v[8:9]
	v_add_f64 v[95:96], v[97:98], v[52:53]
	v_add_f64 v[97:98], v[44:45], v[60:61]
	v_fma_f64 v[99:100], v[107:108], s[6:7], v[105:106]
	v_add_f64 v[101:102], v[46:47], -v[50:51]
	v_add_f64 v[103:104], v[18:19], v[10:11]
	v_fma_f64 v[46:47], v[111:112], s[14:15], v[109:110]
	v_add_f64 v[109:110], v[44:45], -v[48:49]
	v_add_f64 v[113:114], v[60:61], -v[52:53]
	v_fma_f64 v[50:51], v[111:112], s[14:15], v[8:9]
	v_fma_f64 v[8:9], v[97:98], -0.5, v[56:57]
	v_add_f64 v[56:57], v[95:96], v[60:61]
	v_fma_f64 v[95:96], v[101:102], s[10:11], v[99:100]
	v_add_f64 v[97:98], v[4:5], v[14:15]
	v_fma_f64 v[99:100], v[103:104], -0.5, v[4:5]
	s_waitcnt lgkmcnt(0)
	v_add_f64 v[103:104], v[16:17], -v[24:25]
	v_fma_f64 v[105:106], v[107:108], s[4:5], v[105:106]
	v_add_f64 v[109:110], v[109:110], v[113:114]
	v_fma_f64 v[111:112], v[101:102], s[4:5], v[8:9]
	v_add_f64 v[44:45], v[48:49], -v[44:45]
	v_add_f64 v[48:49], v[52:53], -v[60:61]
	v_fma_f64 v[8:9], v[101:102], s[6:7], v[8:9]
	v_add_f64 v[52:53], v[97:98], v[18:19]
	v_fma_f64 v[60:61], v[103:104], s[4:5], v[99:100]
	v_add_f64 v[97:98], v[20:21], -v[12:13]
	v_fma_f64 v[101:102], v[101:102], s[2:3], v[105:106]
	v_add_f64 v[105:106], v[14:15], v[22:23]
	v_add_f64 v[113:114], v[14:15], -v[18:19]
	v_add_f64 v[115:116], v[22:23], -v[10:11]
	v_fma_f64 v[111:112], v[107:108], s[10:11], v[111:112]
	v_add_f64 v[117:118], v[44:45], v[48:49]
	v_fma_f64 v[8:9], v[107:108], s[2:3], v[8:9]
	v_add_f64 v[107:108], v[52:53], v[10:11]
	v_fma_f64 v[119:120], v[97:98], s[2:3], v[60:61]
	v_fma_f64 v[44:45], v[109:110], s[14:15], v[95:96]
	v_fma_f64 v[95:96], v[105:106], -0.5, v[4:5]
	v_fma_f64 v[60:61], v[109:110], s[14:15], v[101:102]
	v_add_f64 v[101:102], v[20:21], v[12:13]
	v_add_f64 v[109:110], v[16:17], v[24:25]
	;; [unrolled: 1-line block ×3, first 2 shown]
	v_fma_f64 v[48:49], v[117:118], s[14:15], v[111:112]
	v_fma_f64 v[52:53], v[117:118], s[14:15], v[8:9]
	v_add_f64 v[8:9], v[107:108], v[22:23]
	v_fma_f64 v[99:100], v[103:104], s[6:7], v[99:100]
	v_fma_f64 v[105:106], v[97:98], s[6:7], v[95:96]
	v_add_f64 v[107:108], v[18:19], -v[14:15]
	v_add_f64 v[111:112], v[10:11], -v[22:23]
	v_add_f64 v[115:116], v[6:7], v[16:17]
	v_fma_f64 v[101:102], v[101:102], -0.5, v[6:7]
	v_add_f64 v[14:15], v[14:15], -v[22:23]
	v_add_f64 v[10:11], v[18:19], -v[10:11]
	v_fma_f64 v[6:7], v[109:110], -0.5, v[6:7]
	v_fma_f64 v[22:23], v[97:98], s[10:11], v[99:100]
	v_fma_f64 v[99:100], v[103:104], s[2:3], v[105:106]
	v_add_f64 v[18:19], v[107:108], v[111:112]
	v_fma_f64 v[95:96], v[97:98], s[4:5], v[95:96]
	v_add_f64 v[97:98], v[115:116], v[20:21]
	v_fma_f64 v[105:106], v[14:15], s[6:7], v[101:102]
	v_add_f64 v[107:108], v[16:17], -v[20:21]
	v_add_f64 v[109:110], v[24:25], -v[12:13]
	v_fma_f64 v[101:102], v[14:15], s[4:5], v[101:102]
	v_fma_f64 v[111:112], v[10:11], s[4:5], v[6:7]
	v_add_f64 v[16:17], v[20:21], -v[16:17]
	v_add_f64 v[20:21], v[12:13], -v[24:25]
	v_fma_f64 v[6:7], v[10:11], s[6:7], v[6:7]
	v_fma_f64 v[95:96], v[103:104], s[10:11], v[95:96]
	v_add_f64 v[97:98], v[97:98], v[12:13]
	v_fma_f64 v[103:104], v[10:11], s[10:11], v[105:106]
	v_add_f64 v[105:106], v[107:108], v[109:110]
	v_fma_f64 v[101:102], v[10:11], s[2:3], v[101:102]
	v_fma_f64 v[107:108], v[14:15], s[10:11], v[111:112]
	v_add_f64 v[109:110], v[16:17], v[20:21]
	v_fma_f64 v[111:112], v[14:15], s[2:3], v[6:7]
	v_fma_f64 v[4:5], v[113:114], s[14:15], v[119:120]
	;; [unrolled: 1-line block ×5, first 2 shown]
	v_add_f64 v[10:11], v[97:98], v[24:25]
	v_fma_f64 v[6:7], v[105:106], s[14:15], v[103:104]
	v_fma_f64 v[18:19], v[105:106], s[14:15], v[101:102]
	;; [unrolled: 1-line block ×4, first 2 shown]
	s_movk_i32 s2, 0x50
	v_mad_u32_u24 v24, v82, s2, v93
	s_barrier
	ds_write_b128 v24, v[0:3]
	ds_write_b128 v24, v[38:41] offset:16
	ds_write_b128 v24, v[34:37] offset:32
	;; [unrolled: 1-line block ×4, first 2 shown]
	v_mad_i32_i24 v0, v86, s2, v93
	ds_write_b128 v0, v[78:81]
	ds_write_b128 v0, v[74:77] offset:16
	ds_write_b128 v0, v[70:73] offset:32
	;; [unrolled: 1-line block ×4, first 2 shown]
	v_mad_i32_i24 v0, v90, s2, 0
	v_add_u32_e32 v1, v0, v94
	v_cmp_gt_u32_e32 vcc, 15, v82
	ds_write_b128 v1, v[54:57]
	ds_write_b128 v1, v[42:45] offset:16
	ds_write_b128 v1, v[46:49] offset:32
	;; [unrolled: 1-line block ×4, first 2 shown]
	s_and_saveexec_b64 s[2:3], vcc
	s_cbranch_execz .LBB0_14
; %bb.13:
	v_mul_i32_i24_e32 v1, 0x50, v88
	v_add3_u32 v1, 0, v1, v94
	ds_write_b128 v1, v[8:11]
	ds_write_b128 v1, v[4:7] offset:16
	ds_write_b128 v1, v[12:15] offset:32
	;; [unrolled: 1-line block ×4, first 2 shown]
.LBB0_14:
	s_or_b64 exec, exec, s[2:3]
	v_lshlrev_b32_e32 v1, 4, v86
	v_add3_u32 v81, 0, v1, v94
	v_lshlrev_b32_e32 v1, 6, v90
	v_sub_u32_e32 v0, v0, v1
	v_add_u32_e32 v80, v0, v94
	s_waitcnt lgkmcnt(0)
	s_barrier
	ds_read_b128 v[28:31], v92
	ds_read_b128 v[40:43], v83 offset:3840
	ds_read_b128 v[60:63], v83 offset:7680
	;; [unrolled: 1-line block ×5, first 2 shown]
	ds_read_b128 v[0:3], v80
	ds_read_b128 v[68:71], v83 offset:5040
	ds_read_b128 v[44:47], v83 offset:6240
	;; [unrolled: 1-line block ×6, first 2 shown]
	ds_read_b128 v[24:27], v81
	ds_read_b128 v[56:59], v83 offset:17760
	v_lshlrev_b32_e32 v95, 4, v88
	s_and_saveexec_b64 s[2:3], vcc
	s_cbranch_execz .LBB0_16
; %bb.15:
	v_add3_u32 v4, 0, v95, v94
	ds_read_b128 v[8:11], v4
	ds_read_b128 v[4:7], v83 offset:7440
	ds_read_b128 v[12:15], v83 offset:11280
	;; [unrolled: 1-line block ×4, first 2 shown]
.LBB0_16:
	s_or_b64 exec, exec, s[2:3]
	s_movk_i32 s16, 0xcd
	v_mul_lo_u16_sdwa v96, v82, s16 dst_sel:DWORD dst_unused:UNUSED_PAD src0_sel:BYTE_0 src1_sel:DWORD
	v_lshrrev_b16_e32 v96, 10, v96
	v_mul_lo_u16_e32 v97, 5, v96
	v_sub_u16_e32 v97, v82, v97
	v_mov_b32_e32 v100, 6
	v_lshlrev_b32_sdwa v98, v100, v97 dst_sel:DWORD dst_unused:UNUSED_PAD src0_sel:DWORD src1_sel:BYTE_0
	global_load_dwordx4 v[103:106], v98, s[8:9]
	global_load_dwordx4 v[107:110], v98, s[8:9] offset:16
	global_load_dwordx4 v[111:114], v98, s[8:9] offset:32
	;; [unrolled: 1-line block ×3, first 2 shown]
	v_mul_lo_u16_sdwa v98, v86, s16 dst_sel:DWORD dst_unused:UNUSED_PAD src0_sel:BYTE_0 src1_sel:DWORD
	v_lshrrev_b16_e32 v98, 10, v98
	v_mul_lo_u16_e32 v99, 5, v98
	v_sub_u16_e32 v99, v86, v99
	v_lshlrev_b32_sdwa v101, v100, v99 dst_sel:DWORD dst_unused:UNUSED_PAD src0_sel:DWORD src1_sel:BYTE_0
	global_load_dwordx4 v[119:122], v101, s[8:9]
	global_load_dwordx4 v[123:126], v101, s[8:9] offset:16
	global_load_dwordx4 v[127:130], v101, s[8:9] offset:32
	;; [unrolled: 1-line block ×3, first 2 shown]
	v_mul_lo_u16_sdwa v101, v90, s16 dst_sel:DWORD dst_unused:UNUSED_PAD src0_sel:BYTE_0 src1_sel:DWORD
	v_lshrrev_b16_e32 v101, 10, v101
	v_mul_lo_u16_e32 v102, 5, v101
	v_sub_u16_e32 v102, v90, v102
	v_lshlrev_b32_sdwa v100, v100, v102 dst_sel:DWORD dst_unused:UNUSED_PAD src0_sel:DWORD src1_sel:BYTE_0
	s_mov_b32 s2, 0xcccd
	global_load_dwordx4 v[135:138], v100, s[8:9]
	global_load_dwordx4 v[139:142], v100, s[8:9] offset:16
	global_load_dwordx4 v[143:146], v100, s[8:9] offset:32
	;; [unrolled: 1-line block ×3, first 2 shown]
	v_mul_u32_u24_sdwa v100, v88, s2 dst_sel:DWORD dst_unused:UNUSED_PAD src0_sel:WORD_0 src1_sel:DWORD
	v_lshrrev_b32_e32 v100, 18, v100
	v_mul_lo_u16_e32 v100, 5, v100
	v_sub_u16_e32 v100, v88, v100
	v_lshlrev_b32_e32 v163, 6, v100
	global_load_dwordx4 v[151:154], v163, s[8:9]
	global_load_dwordx4 v[155:158], v163, s[8:9] offset:16
	global_load_dwordx4 v[159:162], v163, s[8:9] offset:32
	s_nop 0
	global_load_dwordx4 v[163:166], v163, s[8:9] offset:48
	s_mov_b32 s3, 0x3fee6f0e
	s_mov_b32 s2, s4
	s_mov_b32 s6, 0x4755a5e
	s_mov_b32 s7, 0xbfe2cf23
	s_mov_b32 s10, s6
	s_movk_i32 s17, 0x190
	s_waitcnt vmcnt(0) lgkmcnt(0)
	s_barrier
	v_mul_f64 v[167:168], v[42:43], v[105:106]
	v_mul_f64 v[105:106], v[40:41], v[105:106]
	;; [unrolled: 1-line block ×9, first 2 shown]
	v_fma_f64 v[40:41], v[40:41], v[103:104], v[167:168]
	v_fma_f64 v[42:43], v[42:43], v[103:104], -v[105:106]
	v_fma_f64 v[103:104], v[60:61], v[107:108], v[169:170]
	v_fma_f64 v[76:77], v[76:77], v[111:112], v[171:172]
	v_mul_f64 v[175:176], v[70:71], v[121:122]
	v_mul_f64 v[121:122], v[68:69], v[121:122]
	v_mul_f64 v[125:126], v[36:37], v[125:126]
	v_mul_f64 v[181:182], v[34:35], v[133:134]
	v_mul_f64 v[133:134], v[32:33], v[133:134]
	v_mul_f64 v[187:188], v[54:55], v[145:146]
	v_mul_f64 v[191:192], v[6:7], v[153:154]
	v_mul_f64 v[153:154], v[4:5], v[153:154]
	v_mul_f64 v[193:194], v[14:15], v[157:158]
	v_mul_f64 v[157:158], v[12:13], v[157:158]
	v_mul_f64 v[195:196], v[22:23], v[161:162]
	v_mul_f64 v[161:162], v[20:21], v[161:162]
	v_fma_f64 v[105:106], v[62:63], v[107:108], -v[109:110]
	v_fma_f64 v[78:79], v[78:79], v[111:112], -v[113:114]
	v_fma_f64 v[60:61], v[64:65], v[115:116], v[173:174]
	v_fma_f64 v[63:64], v[66:67], v[115:116], -v[117:118]
	v_fma_f64 v[111:112], v[36:37], v[123:124], v[177:178]
	v_fma_f64 v[36:37], v[4:5], v[151:152], v[191:192]
	v_add_f64 v[4:5], v[103:104], v[76:77]
	v_mul_f64 v[145:146], v[52:53], v[145:146]
	v_mul_f64 v[189:190], v[58:59], v[149:150]
	v_mul_f64 v[149:150], v[56:57], v[149:150]
	v_mul_f64 v[197:198], v[18:19], v[165:166]
	v_mul_f64 v[165:166], v[16:17], v[165:166]
	v_fma_f64 v[107:108], v[68:69], v[119:120], v[175:176]
	v_fma_f64 v[109:110], v[70:71], v[119:120], -v[121:122]
	v_fma_f64 v[113:114], v[38:39], v[123:124], -v[125:126]
	;; [unrolled: 1-line block ×3, first 2 shown]
	v_fma_f64 v[119:120], v[52:53], v[143:144], v[187:188]
	v_fma_f64 v[38:39], v[6:7], v[151:152], -v[153:154]
	v_fma_f64 v[34:35], v[14:15], v[155:156], -v[157:158]
	v_fma_f64 v[14:15], v[20:21], v[159:160], v[195:196]
	v_fma_f64 v[20:21], v[22:23], v[159:160], -v[161:162]
	v_add_f64 v[6:7], v[40:41], v[60:61]
	v_add_f64 v[22:23], v[42:43], -v[63:64]
	v_fma_f64 v[4:5], v[4:5], -0.5, v[28:29]
	v_add_f64 v[52:53], v[28:29], v[40:41]
	v_mul_f64 v[179:180], v[74:75], v[129:130]
	v_mul_f64 v[129:130], v[72:73], v[129:130]
	v_fma_f64 v[69:70], v[32:33], v[131:132], v[181:182]
	v_fma_f64 v[121:122], v[54:55], v[143:144], -v[145:146]
	v_fma_f64 v[123:124], v[56:57], v[147:148], v[189:190]
	v_fma_f64 v[125:126], v[58:59], v[147:148], -v[149:150]
	v_fma_f64 v[32:33], v[12:13], v[155:156], v[193:194]
	v_fma_f64 v[12:13], v[16:17], v[163:164], v[197:198]
	v_add_f64 v[54:55], v[105:106], -v[78:79]
	v_add_f64 v[56:57], v[40:41], -v[103:104]
	;; [unrolled: 1-line block ×3, first 2 shown]
	v_fma_f64 v[6:7], v[6:7], -0.5, v[28:29]
	v_fma_f64 v[16:17], v[18:19], v[163:164], -v[165:166]
	v_fma_f64 v[18:19], v[22:23], s[4:5], v[4:5]
	v_add_f64 v[28:29], v[30:31], v[42:43]
	v_fma_f64 v[4:5], v[22:23], s[2:3], v[4:5]
	v_add_f64 v[52:53], v[52:53], v[103:104]
	v_fma_f64 v[71:72], v[72:73], v[127:128], v[179:180]
	v_fma_f64 v[115:116], v[74:75], v[127:128], -v[129:130]
	v_add_f64 v[65:66], v[103:104], -v[40:41]
	v_add_f64 v[56:57], v[56:57], v[58:59]
	v_fma_f64 v[58:59], v[54:55], s[2:3], v[6:7]
	v_add_f64 v[67:68], v[76:77], -v[60:61]
	v_fma_f64 v[6:7], v[54:55], s[4:5], v[6:7]
	v_fma_f64 v[18:19], v[54:55], s[6:7], v[18:19]
	;; [unrolled: 1-line block ×3, first 2 shown]
	v_add_f64 v[4:5], v[52:53], v[76:77]
	v_add_f64 v[28:29], v[28:29], v[105:106]
	;; [unrolled: 1-line block ×5, first 2 shown]
	v_fma_f64 v[67:68], v[22:23], s[6:7], v[58:59]
	v_fma_f64 v[22:23], v[22:23], s[10:11], v[6:7]
	v_mul_f64 v[183:184], v[46:47], v[137:138]
	v_add_f64 v[4:5], v[4:5], v[60:61]
	v_add_f64 v[6:7], v[28:29], v[78:79]
	v_add_f64 v[28:29], v[40:41], -v[60:61]
	v_fma_f64 v[40:41], v[52:53], -0.5, v[30:31]
	v_fma_f64 v[30:31], v[54:55], -0.5, v[30:31]
	v_fma_f64 v[53:54], v[56:57], s[14:15], v[18:19]
	v_fma_f64 v[57:58], v[56:57], s[14:15], v[73:74]
	v_add_f64 v[18:19], v[103:104], -v[76:77]
	v_add_f64 v[55:56], v[42:43], -v[105:106]
	;; [unrolled: 1-line block ×3, first 2 shown]
	v_fma_f64 v[61:62], v[65:66], s[14:15], v[67:68]
	v_add_f64 v[6:7], v[6:7], v[63:64]
	v_add_f64 v[42:43], v[105:106], -v[42:43]
	v_fma_f64 v[67:68], v[28:29], s[2:3], v[40:41]
	v_fma_f64 v[40:41], v[28:29], s[4:5], v[40:41]
	v_fma_f64 v[65:66], v[65:66], s[14:15], v[22:23]
	v_add_f64 v[22:23], v[78:79], -v[63:64]
	v_fma_f64 v[63:64], v[18:19], s[4:5], v[30:31]
	v_fma_f64 v[30:31], v[18:19], s[2:3], v[30:31]
	v_add_f64 v[59:60], v[55:56], v[59:60]
	v_add_f64 v[55:56], v[111:112], v[71:72]
	v_fma_f64 v[67:68], v[18:19], s[10:11], v[67:68]
	v_fma_f64 v[18:19], v[18:19], s[6:7], v[40:41]
	v_add_f64 v[40:41], v[24:25], v[107:108]
	v_add_f64 v[22:23], v[42:43], v[22:23]
	;; [unrolled: 1-line block ×3, first 2 shown]
	v_fma_f64 v[63:64], v[28:29], s[10:11], v[63:64]
	v_fma_f64 v[28:29], v[28:29], s[6:7], v[30:31]
	v_fma_f64 v[30:31], v[55:56], -0.5, v[24:25]
	v_add_f64 v[73:74], v[109:110], -v[117:118]
	v_fma_f64 v[55:56], v[59:60], s[14:15], v[67:68]
	v_fma_f64 v[59:60], v[59:60], s[14:15], v[18:19]
	v_add_f64 v[18:19], v[113:114], -v[115:116]
	v_fma_f64 v[24:25], v[42:43], -0.5, v[24:25]
	v_add_f64 v[40:41], v[40:41], v[111:112]
	v_add_f64 v[42:43], v[107:108], -v[111:112]
	v_add_f64 v[75:76], v[69:70], -v[71:72]
	v_fma_f64 v[77:78], v[73:74], s[4:5], v[30:31]
	v_fma_f64 v[30:31], v[73:74], s[2:3], v[30:31]
	;; [unrolled: 1-line block ×5, first 2 shown]
	v_add_f64 v[28:29], v[111:112], -v[107:108]
	v_add_f64 v[103:104], v[71:72], -v[69:70]
	v_fma_f64 v[24:25], v[18:19], s[4:5], v[24:25]
	v_fma_f64 v[77:78], v[18:19], s[6:7], v[77:78]
	;; [unrolled: 1-line block ×3, first 2 shown]
	v_add_f64 v[30:31], v[40:41], v[71:72]
	v_add_f64 v[40:41], v[113:114], v[115:116]
	;; [unrolled: 1-line block ×6, first 2 shown]
	v_add_f64 v[105:106], v[107:108], -v[69:70]
	v_mul_f64 v[185:186], v[50:51], v[141:142]
	v_add_f64 v[69:70], v[30:31], v[69:70]
	v_fma_f64 v[30:31], v[40:41], -0.5, v[26:27]
	v_fma_f64 v[22:23], v[73:74], s[6:7], v[22:23]
	v_add_f64 v[75:76], v[75:76], v[113:114]
	v_fma_f64 v[24:25], v[73:74], s[10:11], v[24:25]
	v_add_f64 v[40:41], v[111:112], -v[71:72]
	v_fma_f64 v[73:74], v[42:43], s[14:15], v[77:78]
	v_fma_f64 v[26:27], v[103:104], -0.5, v[26:27]
	v_fma_f64 v[103:104], v[42:43], s[14:15], v[18:19]
	v_add_f64 v[18:19], v[109:110], -v[113:114]
	v_add_f64 v[42:43], v[117:118], -v[115:116]
	v_fma_f64 v[77:78], v[105:106], s[2:3], v[30:31]
	v_fma_f64 v[30:31], v[105:106], s[4:5], v[30:31]
	v_mul_f64 v[137:138], v[44:45], v[137:138]
	v_mul_f64 v[141:142], v[48:49], v[141:142]
	v_fma_f64 v[44:45], v[44:45], v[135:136], v[183:184]
	v_fma_f64 v[48:49], v[48:49], v[139:140], v[185:186]
	v_add_f64 v[71:72], v[75:76], v[115:116]
	v_add_f64 v[75:76], v[113:114], -v[109:110]
	v_fma_f64 v[109:110], v[40:41], s[4:5], v[26:27]
	v_add_f64 v[111:112], v[115:116], -v[117:118]
	v_add_f64 v[18:19], v[18:19], v[42:43]
	v_fma_f64 v[30:31], v[40:41], s[6:7], v[30:31]
	v_fma_f64 v[26:27], v[40:41], s[2:3], v[26:27]
	v_fma_f64 v[46:47], v[46:47], v[135:136], -v[137:138]
	v_fma_f64 v[50:51], v[50:51], v[139:140], -v[141:142]
	v_fma_f64 v[107:108], v[28:29], s[14:15], v[22:23]
	v_add_f64 v[22:23], v[48:49], v[119:120]
	v_fma_f64 v[42:43], v[40:41], s[10:11], v[77:78]
	v_add_f64 v[40:41], v[0:1], v[44:45]
	;; [unrolled: 2-line block ×3, first 2 shown]
	v_add_f64 v[109:110], v[44:45], v[123:124]
	v_fma_f64 v[111:112], v[28:29], s[14:15], v[24:25]
	v_fma_f64 v[26:27], v[105:106], s[6:7], v[26:27]
	;; [unrolled: 1-line block ×3, first 2 shown]
	v_add_f64 v[28:29], v[44:45], -v[48:49]
	v_add_f64 v[30:31], v[123:124], -v[119:120]
	v_fma_f64 v[22:23], v[22:23], -0.5, v[0:1]
	v_fma_f64 v[75:76], v[18:19], s[14:15], v[42:43]
	v_add_f64 v[42:43], v[46:47], -v[125:126]
	v_add_f64 v[24:25], v[40:41], v[48:49]
	v_add_f64 v[18:19], v[50:51], -v[121:122]
	v_fma_f64 v[0:1], v[109:110], -0.5, v[0:1]
	v_fma_f64 v[109:110], v[113:114], s[14:15], v[77:78]
	v_fma_f64 v[113:114], v[113:114], s[14:15], v[26:27]
	v_add_f64 v[26:27], v[28:29], v[30:31]
	v_add_f64 v[30:31], v[50:51], v[121:122]
	;; [unrolled: 1-line block ×3, first 2 shown]
	v_fma_f64 v[40:41], v[42:43], s[4:5], v[22:23]
	v_add_f64 v[77:78], v[48:49], -v[44:45]
	v_add_f64 v[115:116], v[119:120], -v[123:124]
	v_fma_f64 v[22:23], v[42:43], s[2:3], v[22:23]
	v_add_f64 v[24:25], v[24:25], v[119:120]
	v_fma_f64 v[28:29], v[18:19], s[2:3], v[0:1]
	v_add_f64 v[117:118], v[46:47], v[125:126]
	v_add_f64 v[127:128], v[2:3], v[46:47]
	v_fma_f64 v[0:1], v[18:19], s[4:5], v[0:1]
	v_fma_f64 v[30:31], v[30:31], -0.5, v[2:3]
	v_add_f64 v[44:45], v[44:45], -v[123:124]
	v_fma_f64 v[40:41], v[18:19], s[6:7], v[40:41]
	v_add_f64 v[77:78], v[77:78], v[115:116]
	v_fma_f64 v[22:23], v[18:19], s[10:11], v[22:23]
	v_add_f64 v[18:19], v[48:49], -v[119:120]
	v_add_f64 v[115:116], v[24:25], v[123:124]
	v_fma_f64 v[24:25], v[42:43], s[6:7], v[28:29]
	v_fma_f64 v[2:3], v[117:118], -0.5, v[2:3]
	v_add_f64 v[28:29], v[127:128], v[50:51]
	v_add_f64 v[48:49], v[46:47], -v[50:51]
	v_add_f64 v[117:118], v[125:126], -v[121:122]
	v_fma_f64 v[0:1], v[42:43], s[10:11], v[0:1]
	v_fma_f64 v[42:43], v[44:45], s[2:3], v[30:31]
	v_fma_f64 v[30:31], v[44:45], s[4:5], v[30:31]
	v_add_f64 v[46:47], v[50:51], -v[46:47]
	v_fma_f64 v[50:51], v[18:19], s[4:5], v[2:3]
	v_add_f64 v[28:29], v[28:29], v[121:122]
	v_add_f64 v[121:122], v[121:122], -v[125:126]
	v_add_f64 v[48:49], v[48:49], v[117:118]
	v_add_f64 v[117:118], v[32:33], v[14:15]
	v_fma_f64 v[42:43], v[18:19], s[10:11], v[42:43]
	v_fma_f64 v[30:31], v[18:19], s[6:7], v[30:31]
	;; [unrolled: 1-line block ×4, first 2 shown]
	v_add_f64 v[40:41], v[12:13], -v[14:15]
	v_fma_f64 v[123:124], v[26:27], s[14:15], v[22:23]
	v_add_f64 v[26:27], v[46:47], v[121:122]
	v_fma_f64 v[18:19], v[117:118], -0.5, v[8:9]
	v_add_f64 v[117:118], v[28:29], v[125:126]
	v_fma_f64 v[125:126], v[48:49], s[14:15], v[30:31]
	v_add_f64 v[30:31], v[36:37], -v[32:33]
	v_fma_f64 v[127:128], v[77:78], s[14:15], v[24:25]
	v_fma_f64 v[24:25], v[44:45], s[10:11], v[50:51]
	;; [unrolled: 1-line block ×5, first 2 shown]
	v_add_f64 v[2:3], v[34:35], v[20:21]
	v_add_f64 v[44:45], v[36:37], v[12:13]
	;; [unrolled: 1-line block ×3, first 2 shown]
	v_mov_b32_e32 v52, 4
	v_add_f64 v[30:31], v[30:31], v[40:41]
	v_mad_u32_u24 v40, v96, s17, 0
	v_lshlrev_b32_sdwa v41, v52, v97 dst_sel:DWORD dst_unused:UNUSED_PAD src0_sel:DWORD src1_sel:BYTE_0
	v_add_f64 v[22:23], v[38:39], -v[16:17]
	v_fma_f64 v[129:130], v[26:27], s[14:15], v[24:25]
	v_add_f64 v[28:29], v[34:35], -v[20:21]
	v_fma_f64 v[133:134], v[26:27], s[14:15], v[0:1]
	v_fma_f64 v[24:25], v[2:3], -0.5, v[10:11]
	v_add_f64 v[26:27], v[36:37], -v[12:13]
	v_add3_u32 v79, v40, v41, v94
	v_add_f64 v[42:43], v[32:33], -v[14:15]
	v_fma_f64 v[40:41], v[44:45], -0.5, v[8:9]
	v_fma_f64 v[44:45], v[48:49], -0.5, v[10:11]
	v_fma_f64 v[46:47], v[22:23], s[4:5], v[18:19]
	v_add_f64 v[0:1], v[38:39], -v[34:35]
	v_add_f64 v[2:3], v[16:17], -v[20:21]
	v_fma_f64 v[48:49], v[26:27], s[2:3], v[24:25]
	v_add_f64 v[50:51], v[32:33], -v[36:37]
	v_add_f64 v[77:78], v[14:15], -v[12:13]
	;; [unrolled: 1-line block ×4, first 2 shown]
	v_fma_f64 v[137:138], v[28:29], s[2:3], v[40:41]
	v_fma_f64 v[139:140], v[42:43], s[4:5], v[44:45]
	;; [unrolled: 1-line block ×3, first 2 shown]
	v_add_f64 v[46:47], v[0:1], v[2:3]
	v_fma_f64 v[2:3], v[42:43], s[10:11], v[48:49]
	v_add_f64 v[50:51], v[50:51], v[77:78]
	ds_write_b128 v79, v[4:7]
	ds_write_b128 v79, v[53:56] offset:80
	ds_write_b128 v79, v[61:64] offset:160
	v_add_f64 v[48:49], v[96:97], v[135:136]
	v_fma_f64 v[77:78], v[22:23], s[6:7], v[137:138]
	v_fma_f64 v[96:97], v[26:27], s[10:11], v[139:140]
	;; [unrolled: 1-line block ×3, first 2 shown]
	v_mad_u32_u24 v53, v98, s17, 0
	v_fma_f64 v[2:3], v[46:47], s[14:15], v[2:3]
	v_lshlrev_b32_sdwa v54, v52, v99 dst_sel:DWORD dst_unused:UNUSED_PAD src0_sel:DWORD src1_sel:BYTE_0
	v_add3_u32 v53, v53, v54, v94
	ds_write_b128 v79, v[65:68] offset:240
	ds_write_b128 v79, v[57:60] offset:320
	v_fma_f64 v[4:5], v[50:51], s[14:15], v[77:78]
	v_fma_f64 v[6:7], v[48:49], s[14:15], v[96:97]
	ds_write_b128 v53, v[69:72]
	ds_write_b128 v53, v[73:76] offset:80
	ds_write_b128 v53, v[107:110] offset:160
	;; [unrolled: 1-line block ×4, first 2 shown]
	v_mad_u32_u24 v53, v101, s17, 0
	v_lshlrev_b32_sdwa v54, v52, v102 dst_sel:DWORD dst_unused:UNUSED_PAD src0_sel:DWORD src1_sel:BYTE_0
	v_add3_u32 v53, v53, v54, v94
	ds_write_b128 v53, v[115:118]
	ds_write_b128 v53, v[119:122] offset:80
	ds_write_b128 v53, v[127:130] offset:160
	ds_write_b128 v53, v[131:134] offset:240
	ds_write_b128 v53, v[123:126] offset:320
	s_and_saveexec_b64 s[4:5], vcc
	s_cbranch_execz .LBB0_18
; %bb.17:
	v_add_f64 v[10:11], v[10:11], v[38:39]
	v_add_f64 v[8:9], v[8:9], v[36:37]
	v_mul_f64 v[55:56], v[28:29], s[10:11]
	v_mul_f64 v[28:29], v[28:29], s[2:3]
	;; [unrolled: 1-line block ×6, first 2 shown]
	v_add_f64 v[10:11], v[10:11], v[34:35]
	v_add_f64 v[8:9], v[8:9], v[32:33]
	v_mul_f64 v[38:39], v[42:43], s[10:11]
	v_mul_f64 v[26:27], v[26:27], s[10:11]
	v_add_f64 v[42:43], v[57:58], v[44:45]
	v_add_f64 v[28:29], v[40:41], -v[28:29]
	v_add_f64 v[24:25], v[24:25], -v[59:60]
	v_add_f64 v[18:19], v[18:19], v[53:54]
	v_add_f64 v[20:21], v[10:11], v[20:21]
	;; [unrolled: 1-line block ×3, first 2 shown]
	v_mul_f64 v[36:37], v[50:51], s[14:15]
	v_mul_f64 v[34:35], v[48:49], s[14:15]
	v_add_f64 v[26:27], v[42:43], -v[26:27]
	v_add_f64 v[22:23], v[22:23], v[28:29]
	v_mul_f64 v[30:31], v[30:31], s[14:15]
	v_mul_f64 v[32:33], v[46:47], s[14:15]
	v_add_f64 v[24:25], v[24:25], -v[38:39]
	v_add_f64 v[28:29], v[55:56], v[18:19]
	v_add_f64 v[18:19], v[20:21], v[16:17]
	;; [unrolled: 1-line block ×5, first 2 shown]
	v_mul_lo_u16_sdwa v20, v88, s16 dst_sel:DWORD dst_unused:UNUSED_PAD src0_sel:BYTE_0 src1_sel:DWORD
	v_lshrrev_b16_e32 v20, 10, v20
	v_add_f64 v[14:15], v[32:33], v[24:25]
	v_add_f64 v[12:13], v[30:31], v[28:29]
	v_mad_u32_u24 v20, v20, s17, 0
	v_lshlrev_b32_e32 v21, 4, v100
	v_add3_u32 v20, v20, v21, v94
	ds_write_b128 v20, v[16:19]
	ds_write_b128 v20, v[0:3] offset:80
	ds_write_b128 v20, v[4:7] offset:160
	ds_write_b128 v20, v[8:11] offset:240
	ds_write_b128 v20, v[12:15] offset:320
.LBB0_18:
	s_or_b64 exec, exec, s[4:5]
	v_mov_b32_e32 v8, 41
	v_mul_lo_u16_sdwa v8, v82, v8 dst_sel:DWORD dst_unused:UNUSED_PAD src0_sel:BYTE_0 src1_sel:DWORD
	v_lshrrev_b16_e32 v12, 10, v8
	v_mul_lo_u16_e32 v8, 25, v12
	v_sub_u16_e32 v13, v82, v8
	v_mov_b32_e32 v8, 15
	v_mul_u32_u24_sdwa v8, v13, v8 dst_sel:DWORD dst_unused:UNUSED_PAD src0_sel:BYTE_0 src1_sel:DWORD
	v_lshlrev_b32_e32 v50, 4, v8
	s_waitcnt lgkmcnt(0)
	s_barrier
	global_load_dwordx4 v[8:11], v50, s[8:9] offset:320
	global_load_dwordx4 v[14:17], v50, s[8:9] offset:336
	global_load_dwordx4 v[18:21], v50, s[8:9] offset:352
	global_load_dwordx4 v[22:25], v50, s[8:9] offset:368
	global_load_dwordx4 v[26:29], v50, s[8:9] offset:384
	global_load_dwordx4 v[30:33], v50, s[8:9] offset:400
	global_load_dwordx4 v[34:37], v50, s[8:9] offset:416
	global_load_dwordx4 v[38:41], v50, s[8:9] offset:432
	global_load_dwordx4 v[42:45], v50, s[8:9] offset:448
	global_load_dwordx4 v[46:49], v50, s[8:9] offset:464
	global_load_dwordx4 v[53:56], v50, s[8:9] offset:480
	global_load_dwordx4 v[57:60], v50, s[8:9] offset:496
	global_load_dwordx4 v[61:64], v50, s[8:9] offset:512
	global_load_dwordx4 v[65:68], v50, s[8:9] offset:528
	global_load_dwordx4 v[69:72], v50, s[8:9] offset:544
	ds_read_b128 v[74:77], v81
	ds_read_b128 v[96:99], v80
	v_add3_u32 v73, 0, v95, v94
	ds_read_b128 v[100:103], v92
	ds_read_b128 v[104:107], v83 offset:4800
	ds_read_b128 v[108:111], v83 offset:6000
	ds_read_b128 v[112:115], v83 offset:7200
	ds_read_b128 v[116:119], v83 offset:8400
	ds_read_b128 v[120:123], v83 offset:9600
	ds_read_b128 v[124:127], v83 offset:10800
	ds_read_b128 v[128:131], v83 offset:12000
	ds_read_b128 v[132:135], v83 offset:13200
	ds_read_b128 v[136:139], v83 offset:14400
	ds_read_b128 v[140:143], v83 offset:15600
	ds_read_b128 v[144:147], v83 offset:16800
	ds_read_b128 v[148:151], v83 offset:18000
	ds_read_b128 v[152:155], v73
	s_mov_b32 s2, 0x667f3bcd
	s_mov_b32 s3, 0xbfe6a09e
	;; [unrolled: 1-line block ×12, first 2 shown]
	v_lshlrev_b32_sdwa v13, v52, v13 dst_sel:DWORD dst_unused:UNUSED_PAD src0_sel:DWORD src1_sel:BYTE_0
	s_waitcnt vmcnt(0) lgkmcnt(0)
	s_barrier
	v_cmp_gt_u32_e32 vcc, 25, v82
	v_mul_f64 v[50:51], v[76:77], v[10:11]
	v_mul_f64 v[10:11], v[74:75], v[10:11]
	;; [unrolled: 1-line block ×28, first 2 shown]
	v_fma_f64 v[50:51], v[74:75], v[8:9], v[50:51]
	v_fma_f64 v[8:9], v[76:77], v[8:9], -v[10:11]
	v_fma_f64 v[10:11], v[96:97], v[14:15], v[78:79]
	v_fma_f64 v[14:15], v[98:99], v[14:15], -v[16:17]
	;; [unrolled: 2-line block ×14, first 2 shown]
	v_mul_f64 v[180:181], v[150:151], v[71:72]
	v_mul_f64 v[71:72], v[148:149], v[71:72]
	v_add_f64 v[38:39], v[102:103], -v[38:39]
	v_add_f64 v[57:58], v[22:23], -v[57:58]
	;; [unrolled: 1-line block ×6, first 2 shown]
	v_fma_f64 v[67:68], v[148:149], v[69:70], v[180:181]
	v_fma_f64 v[69:70], v[150:151], v[69:70], -v[71:72]
	v_add_f64 v[44:45], v[10:11], -v[44:45]
	v_add_f64 v[63:64], v[28:29], -v[63:64]
	v_fma_f64 v[74:75], v[102:103], 2.0, -v[38:39]
	v_fma_f64 v[22:23], v[22:23], 2.0, -v[57:58]
	;; [unrolled: 1-line block ×8, first 2 shown]
	v_add_f64 v[40:41], v[50:51], -v[40:41]
	v_add_f64 v[42:43], v[8:9], -v[42:43]
	;; [unrolled: 1-line block ×7, first 2 shown]
	v_add_f64 v[57:58], v[36:37], v[57:58]
	v_add_f64 v[55:56], v[38:39], -v[55:56]
	v_add_f64 v[30:31], v[14:15], -v[30:31]
	v_add_f64 v[65:66], v[44:45], v[65:66]
	v_add_f64 v[63:64], v[46:47], -v[63:64]
	v_add_f64 v[59:60], v[24:25], -v[59:60]
	v_add_f64 v[67:68], v[32:33], -v[67:68]
	v_fma_f64 v[8:9], v[8:9], 2.0, -v[42:43]
	v_fma_f64 v[26:27], v[26:27], 2.0, -v[61:62]
	v_fma_f64 v[18:19], v[18:19], 2.0, -v[53:54]
	v_fma_f64 v[34:35], v[34:35], 2.0, -v[69:70]
	v_add_f64 v[20:21], v[71:72], -v[20:21]
	v_add_f64 v[28:29], v[10:11], -v[28:29]
	v_fma_f64 v[74:75], v[74:75], 2.0, -v[22:23]
	v_fma_f64 v[36:37], v[36:37], 2.0, -v[57:58]
	;; [unrolled: 1-line block ×6, first 2 shown]
	v_add_f64 v[61:62], v[40:41], v[61:62]
	v_add_f64 v[69:70], v[48:49], v[69:70]
	v_fma_f64 v[50:51], v[50:51], 2.0, -v[40:41]
	v_fma_f64 v[24:25], v[24:25], 2.0, -v[59:60]
	;; [unrolled: 1-line block ×6, first 2 shown]
	v_add_f64 v[26:27], v[8:9], -v[26:27]
	v_add_f64 v[59:60], v[42:43], -v[59:60]
	;; [unrolled: 1-line block ×4, first 2 shown]
	v_fma_f64 v[40:41], v[40:41], 2.0, -v[61:62]
	v_fma_f64 v[48:49], v[48:49], 2.0, -v[69:70]
	v_fma_f64 v[76:77], v[44:45], s[2:3], v[36:37]
	v_fma_f64 v[78:79], v[46:47], s[2:3], v[38:39]
	v_add_f64 v[97:98], v[74:75], -v[14:15]
	v_fma_f64 v[14:15], v[63:64], s[4:5], v[55:56]
	v_fma_f64 v[8:9], v[8:9], 2.0, -v[26:27]
	v_fma_f64 v[42:43], v[42:43], 2.0, -v[59:60]
	;; [unrolled: 1-line block ×4, first 2 shown]
	v_add_f64 v[95:96], v[71:72], -v[10:11]
	v_fma_f64 v[10:11], v[65:66], s[4:5], v[57:58]
	v_fma_f64 v[76:77], v[46:47], s[4:5], v[76:77]
	;; [unrolled: 1-line block ×3, first 2 shown]
	v_add_f64 v[99:100], v[20:21], v[30:31]
	v_fma_f64 v[103:104], v[65:66], s[2:3], v[14:15]
	v_fma_f64 v[14:15], v[48:49], s[2:3], v[40:41]
	v_add_f64 v[101:102], v[22:23], -v[28:29]
	v_add_f64 v[32:33], v[16:17], -v[32:33]
	;; [unrolled: 1-line block ×3, first 2 shown]
	v_fma_f64 v[30:31], v[71:72], 2.0, -v[95:96]
	v_fma_f64 v[44:45], v[74:75], 2.0, -v[97:98]
	v_fma_f64 v[74:75], v[63:64], s[4:5], v[10:11]
	v_fma_f64 v[10:11], v[36:37], 2.0, -v[76:77]
	v_fma_f64 v[36:37], v[38:39], 2.0, -v[78:79]
	;; [unrolled: 1-line block ×3, first 2 shown]
	v_fma_f64 v[20:21], v[53:54], s[2:3], v[42:43]
	v_fma_f64 v[28:29], v[67:68], s[4:5], v[59:60]
	v_add_f64 v[65:66], v[8:9], -v[18:19]
	v_fma_f64 v[71:72], v[53:54], s[4:5], v[14:15]
	v_fma_f64 v[46:47], v[22:23], 2.0, -v[101:102]
	v_fma_f64 v[22:23], v[69:70], s[4:5], v[61:62]
	v_add_f64 v[107:108], v[26:27], -v[32:33]
	v_fma_f64 v[50:51], v[50:51], 2.0, -v[24:25]
	v_fma_f64 v[16:17], v[16:17], 2.0, -v[32:33]
	v_fma_f64 v[53:54], v[48:49], s[2:3], v[20:21]
	v_add_f64 v[105:106], v[24:25], v[34:35]
	v_fma_f64 v[69:70], v[69:70], s[2:3], v[28:29]
	v_fma_f64 v[8:9], v[8:9], 2.0, -v[65:66]
	v_fma_f64 v[20:21], v[40:41], 2.0, -v[71:72]
	v_fma_f64 v[67:68], v[67:68], s[4:5], v[22:23]
	v_fma_f64 v[22:23], v[26:27], 2.0, -v[107:108]
	v_fma_f64 v[55:56], v[55:56], 2.0, -v[103:104]
	v_add_f64 v[63:64], v[50:51], -v[16:17]
	v_fma_f64 v[18:19], v[42:43], 2.0, -v[53:54]
	v_fma_f64 v[24:25], v[24:25], 2.0, -v[105:106]
	;; [unrolled: 1-line block ×3, first 2 shown]
	v_add_f64 v[16:17], v[44:45], -v[8:9]
	v_fma_f64 v[8:9], v[20:21], s[6:7], v[10:11]
	v_fma_f64 v[57:58], v[57:58], 2.0, -v[74:75]
	v_fma_f64 v[28:29], v[61:62], 2.0, -v[67:68]
	v_fma_f64 v[40:41], v[22:23], s[2:3], v[46:47]
	v_fma_f64 v[32:33], v[18:19], s[6:7], v[36:37]
	;; [unrolled: 1-line block ×4, first 2 shown]
	v_fma_f64 v[14:15], v[50:51], 2.0, -v[63:64]
	v_fma_f64 v[18:19], v[18:19], s[10:11], v[8:9]
	v_fma_f64 v[8:9], v[71:72], s[10:11], v[76:77]
	;; [unrolled: 1-line block ×8, first 2 shown]
	v_fma_f64 v[34:35], v[10:11], 2.0, -v[18:19]
	v_fma_f64 v[10:11], v[53:54], s[10:11], v[78:79]
	v_fma_f64 v[26:27], v[26:27], s[16:17], v[42:43]
	;; [unrolled: 1-line block ×4, first 2 shown]
	v_add_f64 v[14:15], v[30:31], -v[14:15]
	v_fma_f64 v[20:21], v[20:21], s[14:15], v[32:33]
	v_fma_f64 v[40:41], v[46:47], 2.0, -v[24:25]
	v_add_f64 v[46:47], v[95:96], v[65:66]
	v_add_f64 v[48:49], v[97:98], -v[63:64]
	v_fma_f64 v[32:33], v[44:45], 2.0, -v[16:17]
	v_fma_f64 v[44:45], v[55:56], 2.0, -v[28:29]
	v_fma_f64 v[53:54], v[53:54], s[16:17], v[8:9]
	v_fma_f64 v[55:56], v[71:72], s[6:7], v[10:11]
	v_fma_f64 v[42:43], v[57:58], 2.0, -v[26:27]
	v_fma_f64 v[57:58], v[107:108], s[4:5], v[50:51]
	v_fma_f64 v[59:60], v[105:106], s[2:3], v[59:60]
	;; [unrolled: 1-line block ×4, first 2 shown]
	v_fma_f64 v[30:31], v[30:31], 2.0, -v[14:15]
	v_fma_f64 v[36:37], v[36:37], 2.0, -v[20:21]
	;; [unrolled: 1-line block ×7, first 2 shown]
	s_movk_i32 s2, 0x1900
	v_fma_f64 v[69:70], v[99:100], 2.0, -v[57:58]
	v_fma_f64 v[71:72], v[101:102], 2.0, -v[59:60]
	v_mad_u32_u24 v12, v12, s2, 0
	v_fma_f64 v[74:75], v[74:75], 2.0, -v[8:9]
	v_fma_f64 v[76:77], v[103:104], 2.0, -v[10:11]
	v_add3_u32 v12, v12, v13, v94
	ds_write_b128 v12, v[30:33]
	ds_write_b128 v12, v[34:37] offset:400
	ds_write_b128 v12, v[38:41] offset:800
	;; [unrolled: 1-line block ×15, first 2 shown]
	s_waitcnt lgkmcnt(0)
	s_barrier
	ds_read_b128 v[64:67], v83 offset:6400
	ds_read_b128 v[60:63], v83 offset:7600
	ds_read_b128 v[24:27], v81
	ds_read_b128 v[20:23], v80
	ds_read_b128 v[52:55], v83 offset:14000
	ds_read_b128 v[44:47], v83 offset:15200
	ds_read_b128 v[16:19], v73
	ds_read_b128 v[56:59], v83 offset:8800
	ds_read_b128 v[48:51], v83 offset:10000
	;; [unrolled: 3-line block ×3, first 2 shown]
	ds_read_b128 v[32:35], v83 offset:11200
	ds_read_b128 v[40:43], v83 offset:16400
	ds_read_b128 v[36:39], v83 offset:17600
	s_and_saveexec_b64 s[2:3], vcc
	s_cbranch_execz .LBB0_20
; %bb.19:
	ds_read_b128 v[8:11], v83 offset:6000
	ds_read_b128 v[0:3], v83 offset:12400
	;; [unrolled: 1-line block ×3, first 2 shown]
.LBB0_20:
	s_or_b64 exec, exec, s[2:3]
	v_lshlrev_b32_e32 v75, 1, v82
	v_mov_b32_e32 v76, 0
	v_lshlrev_b64 v[74:75], 4, v[75:76]
	v_mov_b32_e32 v79, s9
	v_add_co_u32_e64 v77, s[2:3], s8, v74
	v_addc_co_u32_e64 v78, s[2:3], v79, v75, s[2:3]
	s_movk_i32 s4, 0x18b0
	v_add_co_u32_e64 v74, s[2:3], s4, v77
	v_addc_co_u32_e64 v75, s[2:3], 0, v78, s[2:3]
	s_movk_i32 s10, 0x1000
	v_add_co_u32_e64 v77, s[2:3], s10, v77
	v_addc_co_u32_e64 v78, s[2:3], 0, v78, s[2:3]
	global_load_dwordx4 v[94:97], v[77:78], off offset:2224
	global_load_dwordx4 v[98:101], v[74:75], off offset:16
	v_lshlrev_b32_e32 v75, 1, v86
	v_lshlrev_b64 v[74:75], 4, v[75:76]
	v_add_u32_e32 v72, 0x12c, v82
	v_add_co_u32_e64 v77, s[2:3], s8, v74
	v_addc_co_u32_e64 v78, s[2:3], v79, v75, s[2:3]
	v_add_co_u32_e64 v74, s[2:3], s4, v77
	v_addc_co_u32_e64 v75, s[2:3], 0, v78, s[2:3]
	;; [unrolled: 2-line block ×3, first 2 shown]
	global_load_dwordx4 v[102:105], v[77:78], off offset:2224
	global_load_dwordx4 v[106:109], v[74:75], off offset:16
	v_lshlrev_b32_e32 v75, 1, v90
	v_lshlrev_b64 v[74:75], 4, v[75:76]
	s_mov_b32 s5, 0x3febb67a
	v_add_co_u32_e64 v77, s[2:3], s8, v74
	v_addc_co_u32_e64 v78, s[2:3], v79, v75, s[2:3]
	v_add_co_u32_e64 v74, s[2:3], s4, v77
	v_addc_co_u32_e64 v75, s[2:3], 0, v78, s[2:3]
	;; [unrolled: 2-line block ×3, first 2 shown]
	global_load_dwordx4 v[110:113], v[77:78], off offset:2224
	global_load_dwordx4 v[114:117], v[74:75], off offset:16
	v_lshlrev_b32_e32 v75, 1, v88
	v_lshlrev_b64 v[74:75], 4, v[75:76]
	v_add_co_u32_e64 v77, s[2:3], s8, v74
	v_addc_co_u32_e64 v78, s[2:3], v79, v75, s[2:3]
	v_add_co_u32_e64 v74, s[2:3], s4, v77
	v_addc_co_u32_e64 v75, s[2:3], 0, v78, s[2:3]
	;; [unrolled: 2-line block ×3, first 2 shown]
	global_load_dwordx4 v[118:121], v[77:78], off offset:2224
	global_load_dwordx4 v[122:125], v[74:75], off offset:16
	v_lshlrev_b32_e32 v75, 1, v72
	v_lshlrev_b64 v[74:75], 4, v[75:76]
	v_add_co_u32_e64 v77, s[2:3], s8, v74
	v_addc_co_u32_e64 v78, s[2:3], v79, v75, s[2:3]
	v_add_co_u32_e64 v74, s[2:3], s10, v77
	v_addc_co_u32_e64 v75, s[2:3], 0, v78, s[2:3]
	global_load_dwordx4 v[126:129], v[74:75], off offset:2224
	v_add_co_u32_e64 v74, s[2:3], s4, v77
	v_addc_co_u32_e64 v75, s[2:3], 0, v78, s[2:3]
	global_load_dwordx4 v[130:133], v[74:75], off offset:16
	s_mov_b32 s2, 0xe8584caa
	s_mov_b32 s3, 0xbfebb67a
	;; [unrolled: 1-line block ×3, first 2 shown]
	v_add_u32_e32 v74, 0x177, v82
	v_lshl_add_u32 v75, v89, 4, v91
	s_waitcnt vmcnt(0) lgkmcnt(0)
	s_barrier
	v_mul_f64 v[77:78], v[66:67], v[96:97]
	v_mul_f64 v[96:97], v[64:65], v[96:97]
	v_mul_f64 v[134:135], v[70:71], v[100:101]
	v_mul_f64 v[100:101], v[68:69], v[100:101]
	v_fma_f64 v[64:65], v[64:65], v[94:95], v[77:78]
	v_fma_f64 v[66:67], v[66:67], v[94:95], -v[96:97]
	v_fma_f64 v[68:69], v[68:69], v[98:99], v[134:135]
	v_fma_f64 v[70:71], v[70:71], v[98:99], -v[100:101]
	v_mul_f64 v[136:137], v[62:63], v[104:105]
	v_mul_f64 v[104:105], v[60:61], v[104:105]
	v_mul_f64 v[77:78], v[54:55], v[108:109]
	v_mul_f64 v[94:95], v[52:53], v[108:109]
	v_fma_f64 v[60:61], v[60:61], v[102:103], v[136:137]
	v_fma_f64 v[62:63], v[62:63], v[102:103], -v[104:105]
	v_fma_f64 v[52:53], v[52:53], v[106:107], v[77:78]
	v_fma_f64 v[54:55], v[54:55], v[106:107], -v[94:95]
	;; [unrolled: 8-line block ×3, first 2 shown]
	v_mul_f64 v[102:103], v[50:51], v[120:121]
	v_mul_f64 v[96:97], v[42:43], v[124:125]
	;; [unrolled: 1-line block ×4, first 2 shown]
	v_fma_f64 v[100:101], v[48:49], v[118:119], v[102:103]
	v_add_f64 v[48:49], v[64:65], v[68:69]
	v_fma_f64 v[96:97], v[40:41], v[122:123], v[96:97]
	v_fma_f64 v[94:95], v[50:51], v[118:119], -v[94:95]
	v_fma_f64 v[104:105], v[42:43], v[122:123], -v[44:45]
	v_mul_f64 v[46:47], v[34:35], v[128:129]
	v_mul_f64 v[40:41], v[32:33], v[128:129]
	v_add_f64 v[42:43], v[28:29], v[64:65]
	v_fma_f64 v[44:45], v[48:49], -0.5, v[28:29]
	v_mul_f64 v[50:51], v[38:39], v[132:133]
	v_mul_f64 v[102:103], v[36:37], v[132:133]
	v_add_f64 v[48:49], v[64:65], -v[68:69]
	v_fma_f64 v[106:107], v[32:33], v[126:127], v[46:47]
	v_add_f64 v[46:47], v[66:67], -v[70:71]
	v_fma_f64 v[108:109], v[34:35], v[126:127], -v[40:41]
	v_add_f64 v[34:35], v[66:67], v[70:71]
	v_add_f64 v[40:41], v[60:61], v[52:53]
	v_fma_f64 v[110:111], v[36:37], v[130:131], v[50:51]
	v_fma_f64 v[102:103], v[38:39], v[130:131], -v[102:103]
	v_add_f64 v[28:29], v[42:43], v[68:69]
	v_add_f64 v[38:39], v[30:31], v[66:67]
	v_fma_f64 v[32:33], v[46:47], s[2:3], v[44:45]
	v_fma_f64 v[36:37], v[46:47], s[4:5], v[44:45]
	v_fma_f64 v[42:43], v[34:35], -0.5, v[30:31]
	v_add_f64 v[44:45], v[24:25], v[60:61]
	v_add_f64 v[46:47], v[62:63], v[54:55]
	v_fma_f64 v[50:51], v[40:41], -0.5, v[24:25]
	v_add_f64 v[64:65], v[62:63], -v[54:55]
	v_add_f64 v[62:63], v[26:27], v[62:63]
	v_add_f64 v[30:31], v[38:39], v[70:71]
	v_add_f64 v[68:69], v[94:95], -v[104:105]
	v_fma_f64 v[34:35], v[48:49], s[4:5], v[42:43]
	v_fma_f64 v[38:39], v[48:49], s[2:3], v[42:43]
	v_add_f64 v[24:25], v[44:45], v[52:53]
	v_add_f64 v[42:43], v[56:57], v[77:78]
	v_fma_f64 v[46:47], v[46:47], -0.5, v[26:27]
	v_fma_f64 v[40:41], v[64:65], s[2:3], v[50:51]
	v_fma_f64 v[44:45], v[64:65], s[4:5], v[50:51]
	v_add_f64 v[26:27], v[62:63], v[54:55]
	v_add_f64 v[50:51], v[58:59], v[98:99]
	;; [unrolled: 1-line block ×3, first 2 shown]
	v_add_f64 v[48:49], v[60:61], -v[52:53]
	v_add_f64 v[52:53], v[20:21], v[56:57]
	v_fma_f64 v[54:55], v[42:43], -0.5, v[20:21]
	v_add_f64 v[60:61], v[58:59], -v[98:99]
	v_add_f64 v[58:59], v[22:23], v[58:59]
	v_add_f64 v[56:57], v[56:57], -v[77:78]
	v_fma_f64 v[64:65], v[50:51], -0.5, v[22:23]
	v_fma_f64 v[62:63], v[62:63], -0.5, v[16:17]
	v_fma_f64 v[42:43], v[48:49], s[4:5], v[46:47]
	v_fma_f64 v[46:47], v[48:49], s[2:3], v[46:47]
	v_add_f64 v[20:21], v[52:53], v[77:78]
	v_fma_f64 v[48:49], v[60:61], s[2:3], v[54:55]
	v_add_f64 v[66:67], v[16:17], v[100:101]
	;; [unrolled: 2-line block ×5, first 2 shown]
	v_fma_f64 v[56:57], v[68:69], s[2:3], v[62:63]
	v_fma_f64 v[60:61], v[68:69], s[4:5], v[62:63]
	v_add_f64 v[62:63], v[108:109], v[102:103]
	v_add_f64 v[16:17], v[66:67], v[96:97]
	;; [unrolled: 1-line block ×3, first 2 shown]
	v_fma_f64 v[68:69], v[58:59], -0.5, v[18:19]
	v_add_f64 v[70:71], v[100:101], -v[96:97]
	v_add_f64 v[77:78], v[12:13], v[106:107]
	v_fma_f64 v[94:95], v[64:65], -0.5, v[12:13]
	v_add_f64 v[96:97], v[108:109], -v[102:103]
	v_add_f64 v[98:99], v[14:15], v[108:109]
	;; [unrolled: 3-line block ×3, first 2 shown]
	v_fma_f64 v[58:59], v[70:71], s[4:5], v[68:69]
	v_fma_f64 v[62:63], v[70:71], s[2:3], v[68:69]
	v_add_f64 v[12:13], v[77:78], v[110:111]
	v_fma_f64 v[64:65], v[96:97], s[2:3], v[94:95]
	v_fma_f64 v[68:69], v[96:97], s[4:5], v[94:95]
	v_add_f64 v[14:15], v[98:99], v[102:103]
	v_fma_f64 v[66:67], v[106:107], s[4:5], v[100:101]
	v_fma_f64 v[70:71], v[106:107], s[2:3], v[100:101]
	ds_write_b128 v83, v[28:31]
	ds_write_b128 v83, v[32:35] offset:6400
	ds_write_b128 v83, v[36:39] offset:12800
	ds_write_b128 v81, v[24:27]
	ds_write_b128 v81, v[40:43] offset:6400
	ds_write_b128 v81, v[44:47] offset:12800
	;; [unrolled: 3-line block ×4, first 2 shown]
	ds_write_b128 v83, v[12:15] offset:4800
	ds_write_b128 v75, v[64:67] offset:11200
	;; [unrolled: 1-line block ×3, first 2 shown]
	s_and_saveexec_b64 s[6:7], vcc
	s_cbranch_execz .LBB0_22
; %bb.21:
	v_subrev_u32_e32 v12, 25, v82
	v_cndmask_b32_e32 v12, v12, v74, vcc
	v_lshlrev_b32_e32 v75, 1, v12
	v_lshlrev_b64 v[12:13], 4, v[75:76]
	v_mov_b32_e32 v14, s9
	v_add_co_u32_e32 v12, vcc, s8, v12
	v_addc_co_u32_e32 v13, vcc, v14, v13, vcc
	v_add_co_u32_e32 v20, vcc, 0x18b0, v12
	v_addc_co_u32_e32 v21, vcc, 0, v13, vcc
	;; [unrolled: 2-line block ×3, first 2 shown]
	global_load_dwordx4 v[12:15], v[22:23], off offset:2224
	global_load_dwordx4 v[16:19], v[20:21], off offset:16
	s_waitcnt vmcnt(1)
	v_mul_f64 v[20:21], v[0:1], v[14:15]
	s_waitcnt vmcnt(0)
	v_mul_f64 v[22:23], v[4:5], v[18:19]
	v_mul_f64 v[14:15], v[2:3], v[14:15]
	;; [unrolled: 1-line block ×3, first 2 shown]
	v_fma_f64 v[2:3], v[2:3], v[12:13], -v[20:21]
	v_fma_f64 v[6:7], v[6:7], v[16:17], -v[22:23]
	v_fma_f64 v[0:1], v[0:1], v[12:13], v[14:15]
	v_fma_f64 v[4:5], v[4:5], v[16:17], v[18:19]
	v_add_f64 v[18:19], v[10:11], v[2:3]
	v_add_f64 v[12:13], v[2:3], v[6:7]
	;; [unrolled: 1-line block ×3, first 2 shown]
	v_add_f64 v[16:17], v[0:1], -v[4:5]
	v_add_f64 v[0:1], v[8:9], v[0:1]
	v_fma_f64 v[10:11], v[12:13], -0.5, v[10:11]
	v_add_f64 v[12:13], v[2:3], -v[6:7]
	v_fma_f64 v[14:15], v[14:15], -0.5, v[8:9]
	v_add_f64 v[2:3], v[18:19], v[6:7]
	v_add_f64 v[0:1], v[0:1], v[4:5]
	v_fma_f64 v[6:7], v[16:17], s[2:3], v[10:11]
	v_fma_f64 v[10:11], v[16:17], s[4:5], v[10:11]
	;; [unrolled: 1-line block ×4, first 2 shown]
	ds_write_b128 v83, v[0:3] offset:6000
	ds_write_b128 v83, v[8:11] offset:12400
	;; [unrolled: 1-line block ×3, first 2 shown]
.LBB0_22:
	s_or_b64 exec, exec, s[6:7]
	s_waitcnt lgkmcnt(0)
	s_barrier
	ds_read_b128 v[4:7], v92
	s_add_u32 s4, s8, 0x4ab0
	s_addc_u32 s5, s9, 0
	v_sub_u32_e32 v12, v93, v87
	v_cmp_ne_u32_e32 vcc, 0, v82
                                        ; implicit-def: $vgpr0_vgpr1
                                        ; implicit-def: $vgpr8_vgpr9
                                        ; implicit-def: $vgpr10_vgpr11
	s_and_saveexec_b64 s[2:3], vcc
	s_xor_b64 s[2:3], exec, s[2:3]
	s_cbranch_execz .LBB0_24
; %bb.23:
	v_mov_b32_e32 v83, 0
	v_lshlrev_b64 v[0:1], 4, v[82:83]
	v_mov_b32_e32 v2, s5
	v_add_co_u32_e32 v0, vcc, s4, v0
	v_addc_co_u32_e32 v1, vcc, v2, v1, vcc
	global_load_dwordx4 v[13:16], v[0:1], off
	ds_read_b128 v[0:3], v12 offset:19200
	s_waitcnt lgkmcnt(0)
	v_add_f64 v[8:9], v[4:5], -v[0:1]
	v_add_f64 v[10:11], v[6:7], v[2:3]
	v_add_f64 v[2:3], v[6:7], -v[2:3]
	v_add_f64 v[0:1], v[4:5], v[0:1]
	v_mul_f64 v[6:7], v[8:9], 0.5
	v_mul_f64 v[4:5], v[10:11], 0.5
	;; [unrolled: 1-line block ×3, first 2 shown]
	s_waitcnt vmcnt(0)
	v_mul_f64 v[8:9], v[6:7], v[15:16]
	v_fma_f64 v[10:11], v[4:5], v[15:16], v[2:3]
	v_fma_f64 v[2:3], v[4:5], v[15:16], -v[2:3]
	v_fma_f64 v[17:18], v[0:1], 0.5, v[8:9]
	v_fma_f64 v[0:1], v[0:1], 0.5, -v[8:9]
	v_fma_f64 v[10:11], -v[13:14], v[6:7], v[10:11]
	v_fma_f64 v[2:3], -v[13:14], v[6:7], v[2:3]
	v_fma_f64 v[8:9], v[4:5], v[13:14], v[17:18]
	v_fma_f64 v[0:1], -v[4:5], v[13:14], v[0:1]
                                        ; implicit-def: $vgpr4_vgpr5
.LBB0_24:
	s_andn2_saveexec_b64 s[2:3], s[2:3]
	s_cbranch_execz .LBB0_26
; %bb.25:
	s_waitcnt lgkmcnt(0)
	v_add_f64 v[8:9], v[4:5], v[6:7]
	ds_read_b64 v[2:3], v93 offset:9608
	v_add_f64 v[0:1], v[4:5], -v[6:7]
	v_mov_b32_e32 v10, 0
	v_mov_b32_e32 v11, 0
	s_waitcnt lgkmcnt(0)
	v_xor_b32_e32 v3, 0x80000000, v3
	ds_write_b64 v93, v[2:3] offset:9608
	v_mov_b32_e32 v2, v10
	v_mov_b32_e32 v3, v11
.LBB0_26:
	s_or_b64 exec, exec, s[2:3]
	v_mov_b32_e32 v87, 0
	s_waitcnt lgkmcnt(0)
	v_lshlrev_b64 v[4:5], 4, v[86:87]
	v_mov_b32_e32 v6, s5
	v_add_co_u32_e32 v4, vcc, s4, v4
	v_addc_co_u32_e32 v5, vcc, v6, v5, vcc
	global_load_dwordx4 v[4:7], v[4:5], off
	v_mov_b32_e32 v91, v87
	v_lshlrev_b64 v[13:14], 4, v[90:91]
	v_mov_b32_e32 v15, s5
	v_add_co_u32_e32 v13, vcc, s4, v13
	v_addc_co_u32_e32 v14, vcc, v15, v14, vcc
	global_load_dwordx4 v[13:16], v[13:14], off
	ds_write2_b64 v92, v[8:9], v[10:11] offset1:1
	ds_write_b128 v12, v[0:3] offset:19200
	v_lshl_add_u32 v25, v86, 4, v93
	ds_read_b128 v[0:3], v25
	ds_read_b128 v[8:11], v12 offset:18000
	v_mov_b32_e32 v89, v87
	v_mov_b32_e32 v26, s5
	;; [unrolled: 1-line block ×4, first 2 shown]
	s_waitcnt lgkmcnt(0)
	v_add_f64 v[17:18], v[0:1], -v[8:9]
	v_add_f64 v[19:20], v[2:3], v[10:11]
	v_add_f64 v[2:3], v[2:3], -v[10:11]
	v_add_f64 v[0:1], v[0:1], v[8:9]
	v_add_u32_e32 v86, 0x1c2, v82
	s_movk_i32 s3, 0x1000
	s_movk_i32 s2, 0x2000
	v_mul_f64 v[10:11], v[17:18], 0.5
	v_mul_f64 v[17:18], v[19:20], 0.5
	v_mul_f64 v[2:3], v[2:3], 0.5
	v_lshlrev_b64 v[19:20], 4, v[88:89]
	s_waitcnt vmcnt(1)
	v_mul_f64 v[8:9], v[10:11], v[6:7]
	v_fma_f64 v[21:22], v[17:18], v[6:7], v[2:3]
	v_fma_f64 v[6:7], v[17:18], v[6:7], -v[2:3]
	v_fma_f64 v[23:24], v[0:1], 0.5, v[8:9]
	v_fma_f64 v[8:9], v[0:1], 0.5, -v[8:9]
	v_add_co_u32_e32 v0, vcc, s4, v19
	v_addc_co_u32_e32 v1, vcc, v26, v20, vcc
	global_load_dwordx4 v[0:3], v[0:1], off
	v_fma_f64 v[19:20], -v[4:5], v[10:11], v[21:22]
	v_fma_f64 v[6:7], -v[4:5], v[10:11], v[6:7]
	v_fma_f64 v[10:11], v[17:18], v[4:5], v[23:24]
	v_fma_f64 v[4:5], -v[17:18], v[4:5], v[8:9]
	v_lshl_add_u32 v26, v90, 4, v93
	ds_write2_b64 v25, v[10:11], v[19:20] offset1:1
	ds_write_b128 v12, v[4:7] offset:18000
	ds_read_b128 v[4:7], v26
	ds_read_b128 v[8:11], v12 offset:16800
	v_mov_b32_e32 v25, s5
	s_waitcnt lgkmcnt(0)
	v_add_f64 v[17:18], v[4:5], -v[8:9]
	v_add_f64 v[19:20], v[6:7], v[10:11]
	v_add_f64 v[6:7], v[6:7], -v[10:11]
	v_add_f64 v[4:5], v[4:5], v[8:9]
	v_mul_f64 v[10:11], v[17:18], 0.5
	v_mul_f64 v[17:18], v[19:20], 0.5
	;; [unrolled: 1-line block ×3, first 2 shown]
	v_lshlrev_b64 v[19:20], 4, v[72:73]
	s_waitcnt vmcnt(1)
	v_mul_f64 v[8:9], v[10:11], v[15:16]
	v_fma_f64 v[21:22], v[17:18], v[15:16], v[6:7]
	v_fma_f64 v[15:16], v[17:18], v[15:16], -v[6:7]
	v_fma_f64 v[23:24], v[4:5], 0.5, v[8:9]
	v_fma_f64 v[8:9], v[4:5], 0.5, -v[8:9]
	v_add_co_u32_e32 v4, vcc, s4, v19
	v_addc_co_u32_e32 v5, vcc, v25, v20, vcc
	global_load_dwordx4 v[4:7], v[4:5], off
	v_fma_f64 v[19:20], -v[13:14], v[10:11], v[21:22]
	v_fma_f64 v[10:11], -v[13:14], v[10:11], v[15:16]
	v_fma_f64 v[15:16], v[17:18], v[13:14], v[23:24]
	v_fma_f64 v[8:9], -v[17:18], v[13:14], v[8:9]
	v_lshl_add_u32 v25, v88, 4, v93
	ds_write2_b64 v26, v[15:16], v[19:20] offset1:1
	ds_write_b128 v12, v[8:11] offset:16800
	ds_read_b128 v[8:11], v25
	ds_read_b128 v[13:16], v12 offset:15600
	v_mov_b32_e32 v26, s5
	s_waitcnt lgkmcnt(0)
	v_add_f64 v[17:18], v[8:9], -v[13:14]
	v_add_f64 v[19:20], v[10:11], v[15:16]
	v_add_f64 v[10:11], v[10:11], -v[15:16]
	v_add_f64 v[8:9], v[8:9], v[13:14]
	v_mul_f64 v[15:16], v[17:18], 0.5
	v_mul_f64 v[17:18], v[19:20], 0.5
	;; [unrolled: 1-line block ×3, first 2 shown]
	v_lshlrev_b64 v[19:20], 4, v[74:75]
	s_waitcnt vmcnt(1)
	v_mul_f64 v[13:14], v[15:16], v[2:3]
	v_fma_f64 v[21:22], v[17:18], v[2:3], v[10:11]
	v_fma_f64 v[2:3], v[17:18], v[2:3], -v[10:11]
	v_fma_f64 v[23:24], v[8:9], 0.5, v[13:14]
	v_fma_f64 v[13:14], v[8:9], 0.5, -v[13:14]
	v_add_co_u32_e32 v8, vcc, s4, v19
	v_addc_co_u32_e32 v9, vcc, v26, v20, vcc
	global_load_dwordx4 v[8:11], v[8:9], off
	v_fma_f64 v[19:20], -v[0:1], v[15:16], v[21:22]
	v_fma_f64 v[2:3], -v[0:1], v[15:16], v[2:3]
	v_fma_f64 v[15:16], v[17:18], v[0:1], v[23:24]
	v_fma_f64 v[0:1], -v[17:18], v[0:1], v[13:14]
	ds_write2_b64 v25, v[15:16], v[19:20] offset1:1
	ds_write_b128 v12, v[0:3] offset:15600
	ds_read_b128 v[0:3], v92 offset:4800
	ds_read_b128 v[13:16], v12 offset:14400
	v_mov_b32_e32 v25, s5
	s_waitcnt lgkmcnt(0)
	v_add_f64 v[17:18], v[0:1], -v[13:14]
	v_add_f64 v[19:20], v[2:3], v[15:16]
	v_add_f64 v[2:3], v[2:3], -v[15:16]
	v_add_f64 v[0:1], v[0:1], v[13:14]
	v_mul_f64 v[15:16], v[17:18], 0.5
	v_mul_f64 v[17:18], v[19:20], 0.5
	v_mul_f64 v[2:3], v[2:3], 0.5
	v_lshlrev_b64 v[19:20], 4, v[86:87]
	v_add_u32_e32 v86, 0x20d, v82
	s_waitcnt vmcnt(1)
	v_mul_f64 v[13:14], v[15:16], v[6:7]
	v_fma_f64 v[21:22], v[17:18], v[6:7], v[2:3]
	v_fma_f64 v[6:7], v[17:18], v[6:7], -v[2:3]
	v_fma_f64 v[23:24], v[0:1], 0.5, v[13:14]
	v_fma_f64 v[13:14], v[0:1], 0.5, -v[13:14]
	v_add_co_u32_e32 v0, vcc, s4, v19
	v_addc_co_u32_e32 v1, vcc, v25, v20, vcc
	global_load_dwordx4 v[0:3], v[0:1], off
	v_fma_f64 v[19:20], -v[4:5], v[15:16], v[21:22]
	v_fma_f64 v[6:7], -v[4:5], v[15:16], v[6:7]
	v_fma_f64 v[15:16], v[17:18], v[4:5], v[23:24]
	v_fma_f64 v[4:5], -v[17:18], v[4:5], v[13:14]
	v_add_u32_e32 v25, 0x1000, v92
	ds_write2_b64 v25, v[15:16], v[19:20] offset0:88 offset1:89
	ds_write_b128 v12, v[4:7] offset:14400
	ds_read_b128 v[4:7], v92 offset:6000
	ds_read_b128 v[13:16], v12 offset:13200
	s_waitcnt lgkmcnt(0)
	v_add_f64 v[17:18], v[4:5], -v[13:14]
	v_add_f64 v[19:20], v[6:7], v[15:16]
	v_add_f64 v[6:7], v[6:7], -v[15:16]
	v_add_f64 v[4:5], v[4:5], v[13:14]
	v_mul_f64 v[15:16], v[17:18], 0.5
	v_mul_f64 v[17:18], v[19:20], 0.5
	;; [unrolled: 1-line block ×3, first 2 shown]
	v_lshlrev_b64 v[19:20], 4, v[86:87]
	s_waitcnt vmcnt(1)
	v_mul_f64 v[13:14], v[15:16], v[10:11]
	v_fma_f64 v[21:22], v[17:18], v[10:11], v[6:7]
	v_fma_f64 v[10:11], v[17:18], v[10:11], -v[6:7]
	v_fma_f64 v[23:24], v[4:5], 0.5, v[13:14]
	v_fma_f64 v[13:14], v[4:5], 0.5, -v[13:14]
	v_add_co_u32_e32 v4, vcc, s4, v19
	v_addc_co_u32_e32 v5, vcc, v26, v20, vcc
	global_load_dwordx4 v[4:7], v[4:5], off
	v_fma_f64 v[19:20], -v[8:9], v[15:16], v[21:22]
	v_fma_f64 v[10:11], -v[8:9], v[15:16], v[10:11]
	v_fma_f64 v[15:16], v[17:18], v[8:9], v[23:24]
	v_fma_f64 v[8:9], -v[17:18], v[8:9], v[13:14]
	ds_write2_b64 v25, v[15:16], v[19:20] offset0:238 offset1:239
	ds_write_b128 v12, v[8:11] offset:13200
	ds_read_b128 v[8:11], v92 offset:7200
	ds_read_b128 v[13:16], v12 offset:12000
	s_waitcnt lgkmcnt(0)
	v_add_f64 v[17:18], v[8:9], -v[13:14]
	v_add_f64 v[19:20], v[10:11], v[15:16]
	v_add_f64 v[10:11], v[10:11], -v[15:16]
	v_add_f64 v[8:9], v[8:9], v[13:14]
	v_mul_f64 v[15:16], v[17:18], 0.5
	v_mul_f64 v[17:18], v[19:20], 0.5
	;; [unrolled: 1-line block ×3, first 2 shown]
	s_waitcnt vmcnt(1)
	v_mul_f64 v[13:14], v[15:16], v[2:3]
	v_fma_f64 v[19:20], v[17:18], v[2:3], v[10:11]
	v_fma_f64 v[2:3], v[17:18], v[2:3], -v[10:11]
	v_fma_f64 v[10:11], v[8:9], 0.5, v[13:14]
	v_fma_f64 v[8:9], v[8:9], 0.5, -v[13:14]
	v_fma_f64 v[13:14], -v[0:1], v[15:16], v[19:20]
	v_fma_f64 v[2:3], -v[0:1], v[15:16], v[2:3]
	v_fma_f64 v[10:11], v[17:18], v[0:1], v[10:11]
	v_fma_f64 v[0:1], -v[17:18], v[0:1], v[8:9]
	v_add_u32_e32 v8, 0x1800, v92
	ds_write2_b64 v8, v[10:11], v[13:14] offset0:132 offset1:133
	ds_write_b128 v12, v[0:3] offset:12000
	ds_read_b128 v[0:3], v92 offset:8400
	ds_read_b128 v[8:11], v12 offset:10800
	s_waitcnt lgkmcnt(0)
	v_add_f64 v[13:14], v[0:1], -v[8:9]
	v_add_f64 v[15:16], v[2:3], v[10:11]
	v_add_f64 v[2:3], v[2:3], -v[10:11]
	v_add_f64 v[0:1], v[0:1], v[8:9]
	v_mul_f64 v[10:11], v[13:14], 0.5
	v_mul_f64 v[13:14], v[15:16], 0.5
	v_mul_f64 v[2:3], v[2:3], 0.5
	s_waitcnt vmcnt(0)
	v_mul_f64 v[8:9], v[10:11], v[6:7]
	v_fma_f64 v[15:16], v[13:14], v[6:7], v[2:3]
	v_fma_f64 v[2:3], v[13:14], v[6:7], -v[2:3]
	v_fma_f64 v[6:7], v[0:1], 0.5, v[8:9]
	v_fma_f64 v[0:1], v[0:1], 0.5, -v[8:9]
	v_fma_f64 v[8:9], -v[4:5], v[10:11], v[15:16]
	v_fma_f64 v[2:3], -v[4:5], v[10:11], v[2:3]
	v_fma_f64 v[6:7], v[13:14], v[4:5], v[6:7]
	v_fma_f64 v[0:1], -v[13:14], v[4:5], v[0:1]
	v_add_u32_e32 v4, 0x2000, v92
	ds_write2_b64 v4, v[6:7], v[8:9] offset0:26 offset1:27
	ds_write_b128 v12, v[0:3] offset:10800
	s_waitcnt lgkmcnt(0)
	s_barrier
	s_and_saveexec_b64 s[4:5], s[0:1]
	s_cbranch_execz .LBB0_29
; %bb.27:
	v_mov_b32_e32 v83, v87
	ds_read_b128 v[2:5], v92
	ds_read_b128 v[6:9], v92 offset:1200
	ds_read_b128 v[10:13], v92 offset:2400
	;; [unrolled: 1-line block ×3, first 2 shown]
	v_mov_b32_e32 v0, s13
	v_add_co_u32_e32 v1, vcc, s12, v84
	v_lshlrev_b64 v[18:19], 4, v[82:83]
	v_addc_co_u32_e32 v0, vcc, v0, v85, vcc
	v_add_co_u32_e32 v18, vcc, v1, v18
	v_addc_co_u32_e32 v19, vcc, v0, v19, vcc
	s_waitcnt lgkmcnt(3)
	global_store_dwordx4 v[18:19], v[2:5], off
	s_waitcnt lgkmcnt(2)
	global_store_dwordx4 v[18:19], v[6:9], off offset:1200
	s_waitcnt lgkmcnt(1)
	global_store_dwordx4 v[18:19], v[10:13], off offset:2400
	;; [unrolled: 2-line block ×3, first 2 shown]
	ds_read_b128 v[2:5], v92 offset:4800
	ds_read_b128 v[6:9], v92 offset:6000
	ds_read_b128 v[10:13], v92 offset:7200
	v_add_co_u32_e32 v14, vcc, s3, v18
	v_addc_co_u32_e32 v15, vcc, 0, v19, vcc
	s_waitcnt lgkmcnt(2)
	global_store_dwordx4 v[14:15], v[2:5], off offset:704
	s_waitcnt lgkmcnt(1)
	global_store_dwordx4 v[14:15], v[6:9], off offset:1904
	;; [unrolled: 2-line block ×3, first 2 shown]
	ds_read_b128 v[2:5], v92 offset:8400
	ds_read_b128 v[6:9], v92 offset:9600
	;; [unrolled: 1-line block ×4, first 2 shown]
	v_add_co_u32_e32 v20, vcc, s2, v18
	v_addc_co_u32_e32 v21, vcc, 0, v19, vcc
	s_waitcnt lgkmcnt(3)
	global_store_dwordx4 v[20:21], v[2:5], off offset:208
	s_waitcnt lgkmcnt(2)
	global_store_dwordx4 v[20:21], v[6:9], off offset:1408
	;; [unrolled: 2-line block ×4, first 2 shown]
	ds_read_b128 v[2:5], v92 offset:13200
	ds_read_b128 v[6:9], v92 offset:14400
	ds_read_b128 v[10:13], v92 offset:15600
	s_movk_i32 s0, 0x3000
	v_add_co_u32_e32 v14, vcc, s0, v18
	v_addc_co_u32_e32 v15, vcc, 0, v19, vcc
	s_waitcnt lgkmcnt(2)
	global_store_dwordx4 v[14:15], v[2:5], off offset:912
	s_waitcnt lgkmcnt(1)
	global_store_dwordx4 v[14:15], v[6:9], off offset:2112
	;; [unrolled: 2-line block ×3, first 2 shown]
	ds_read_b128 v[2:5], v92 offset:16800
	ds_read_b128 v[6:9], v92 offset:18000
	v_add_co_u32_e32 v10, vcc, 0x4000, v18
	v_addc_co_u32_e32 v11, vcc, 0, v19, vcc
	s_movk_i32 s0, 0x4a
	v_cmp_eq_u32_e32 vcc, s0, v82
	s_waitcnt lgkmcnt(1)
	global_store_dwordx4 v[10:11], v[2:5], off offset:416
	s_waitcnt lgkmcnt(0)
	global_store_dwordx4 v[10:11], v[6:9], off offset:1616
	s_and_b64 exec, exec, vcc
	s_cbranch_execz .LBB0_29
; %bb.28:
	ds_read_b128 v[2:5], v92 offset:18016
	v_add_co_u32_e32 v6, vcc, 0x4000, v1
	v_addc_co_u32_e32 v7, vcc, 0, v0, vcc
	s_waitcnt lgkmcnt(0)
	global_store_dwordx4 v[6:7], v[2:5], off offset:2816
.LBB0_29:
	s_endpgm
	.section	.rodata,"a",@progbits
	.p2align	6, 0x0
	.amdhsa_kernel fft_rtc_back_len1200_factors_5_5_16_3_wgs_225_tpt_75_halfLds_dp_ip_CI_unitstride_sbrr_R2C_dirReg
		.amdhsa_group_segment_fixed_size 0
		.amdhsa_private_segment_fixed_size 0
		.amdhsa_kernarg_size 88
		.amdhsa_user_sgpr_count 6
		.amdhsa_user_sgpr_private_segment_buffer 1
		.amdhsa_user_sgpr_dispatch_ptr 0
		.amdhsa_user_sgpr_queue_ptr 0
		.amdhsa_user_sgpr_kernarg_segment_ptr 1
		.amdhsa_user_sgpr_dispatch_id 0
		.amdhsa_user_sgpr_flat_scratch_init 0
		.amdhsa_user_sgpr_private_segment_size 0
		.amdhsa_uses_dynamic_stack 0
		.amdhsa_system_sgpr_private_segment_wavefront_offset 0
		.amdhsa_system_sgpr_workgroup_id_x 1
		.amdhsa_system_sgpr_workgroup_id_y 0
		.amdhsa_system_sgpr_workgroup_id_z 0
		.amdhsa_system_sgpr_workgroup_info 0
		.amdhsa_system_vgpr_workitem_id 0
		.amdhsa_next_free_vgpr 199
		.amdhsa_next_free_sgpr 22
		.amdhsa_reserve_vcc 1
		.amdhsa_reserve_flat_scratch 0
		.amdhsa_float_round_mode_32 0
		.amdhsa_float_round_mode_16_64 0
		.amdhsa_float_denorm_mode_32 3
		.amdhsa_float_denorm_mode_16_64 3
		.amdhsa_dx10_clamp 1
		.amdhsa_ieee_mode 1
		.amdhsa_fp16_overflow 0
		.amdhsa_exception_fp_ieee_invalid_op 0
		.amdhsa_exception_fp_denorm_src 0
		.amdhsa_exception_fp_ieee_div_zero 0
		.amdhsa_exception_fp_ieee_overflow 0
		.amdhsa_exception_fp_ieee_underflow 0
		.amdhsa_exception_fp_ieee_inexact 0
		.amdhsa_exception_int_div_zero 0
	.end_amdhsa_kernel
	.text
.Lfunc_end0:
	.size	fft_rtc_back_len1200_factors_5_5_16_3_wgs_225_tpt_75_halfLds_dp_ip_CI_unitstride_sbrr_R2C_dirReg, .Lfunc_end0-fft_rtc_back_len1200_factors_5_5_16_3_wgs_225_tpt_75_halfLds_dp_ip_CI_unitstride_sbrr_R2C_dirReg
                                        ; -- End function
	.section	.AMDGPU.csdata,"",@progbits
; Kernel info:
; codeLenInByte = 13548
; NumSgprs: 26
; NumVgprs: 199
; ScratchSize: 0
; MemoryBound: 0
; FloatMode: 240
; IeeeMode: 1
; LDSByteSize: 0 bytes/workgroup (compile time only)
; SGPRBlocks: 3
; VGPRBlocks: 49
; NumSGPRsForWavesPerEU: 26
; NumVGPRsForWavesPerEU: 199
; Occupancy: 1
; WaveLimiterHint : 1
; COMPUTE_PGM_RSRC2:SCRATCH_EN: 0
; COMPUTE_PGM_RSRC2:USER_SGPR: 6
; COMPUTE_PGM_RSRC2:TRAP_HANDLER: 0
; COMPUTE_PGM_RSRC2:TGID_X_EN: 1
; COMPUTE_PGM_RSRC2:TGID_Y_EN: 0
; COMPUTE_PGM_RSRC2:TGID_Z_EN: 0
; COMPUTE_PGM_RSRC2:TIDIG_COMP_CNT: 0
	.type	__hip_cuid_4158e681726970a8,@object ; @__hip_cuid_4158e681726970a8
	.section	.bss,"aw",@nobits
	.globl	__hip_cuid_4158e681726970a8
__hip_cuid_4158e681726970a8:
	.byte	0                               ; 0x0
	.size	__hip_cuid_4158e681726970a8, 1

	.ident	"AMD clang version 19.0.0git (https://github.com/RadeonOpenCompute/llvm-project roc-6.4.0 25133 c7fe45cf4b819c5991fe208aaa96edf142730f1d)"
	.section	".note.GNU-stack","",@progbits
	.addrsig
	.addrsig_sym __hip_cuid_4158e681726970a8
	.amdgpu_metadata
---
amdhsa.kernels:
  - .args:
      - .actual_access:  read_only
        .address_space:  global
        .offset:         0
        .size:           8
        .value_kind:     global_buffer
      - .offset:         8
        .size:           8
        .value_kind:     by_value
      - .actual_access:  read_only
        .address_space:  global
        .offset:         16
        .size:           8
        .value_kind:     global_buffer
      - .actual_access:  read_only
        .address_space:  global
        .offset:         24
        .size:           8
        .value_kind:     global_buffer
      - .offset:         32
        .size:           8
        .value_kind:     by_value
      - .actual_access:  read_only
        .address_space:  global
        .offset:         40
        .size:           8
        .value_kind:     global_buffer
      - .actual_access:  read_only
        .address_space:  global
        .offset:         48
        .size:           8
        .value_kind:     global_buffer
      - .offset:         56
        .size:           4
        .value_kind:     by_value
      - .actual_access:  read_only
        .address_space:  global
        .offset:         64
        .size:           8
        .value_kind:     global_buffer
      - .actual_access:  read_only
        .address_space:  global
        .offset:         72
        .size:           8
        .value_kind:     global_buffer
      - .address_space:  global
        .offset:         80
        .size:           8
        .value_kind:     global_buffer
    .group_segment_fixed_size: 0
    .kernarg_segment_align: 8
    .kernarg_segment_size: 88
    .language:       OpenCL C
    .language_version:
      - 2
      - 0
    .max_flat_workgroup_size: 225
    .name:           fft_rtc_back_len1200_factors_5_5_16_3_wgs_225_tpt_75_halfLds_dp_ip_CI_unitstride_sbrr_R2C_dirReg
    .private_segment_fixed_size: 0
    .sgpr_count:     26
    .sgpr_spill_count: 0
    .symbol:         fft_rtc_back_len1200_factors_5_5_16_3_wgs_225_tpt_75_halfLds_dp_ip_CI_unitstride_sbrr_R2C_dirReg.kd
    .uniform_work_group_size: 1
    .uses_dynamic_stack: false
    .vgpr_count:     199
    .vgpr_spill_count: 0
    .wavefront_size: 64
amdhsa.target:   amdgcn-amd-amdhsa--gfx906
amdhsa.version:
  - 1
  - 2
...

	.end_amdgpu_metadata
